;; amdgpu-corpus repo=ROCm/rocFFT kind=compiled arch=gfx1201 opt=O3
	.text
	.amdgcn_target "amdgcn-amd-amdhsa--gfx1201"
	.amdhsa_code_object_version 6
	.protected	fft_rtc_back_len1755_factors_13_3_3_3_5_wgs_117_tpt_117_halfLds_dp_op_CI_CI_unitstride_sbrr_dirReg ; -- Begin function fft_rtc_back_len1755_factors_13_3_3_3_5_wgs_117_tpt_117_halfLds_dp_op_CI_CI_unitstride_sbrr_dirReg
	.globl	fft_rtc_back_len1755_factors_13_3_3_3_5_wgs_117_tpt_117_halfLds_dp_op_CI_CI_unitstride_sbrr_dirReg
	.p2align	8
	.type	fft_rtc_back_len1755_factors_13_3_3_3_5_wgs_117_tpt_117_halfLds_dp_op_CI_CI_unitstride_sbrr_dirReg,@function
fft_rtc_back_len1755_factors_13_3_3_3_5_wgs_117_tpt_117_halfLds_dp_op_CI_CI_unitstride_sbrr_dirReg: ; @fft_rtc_back_len1755_factors_13_3_3_3_5_wgs_117_tpt_117_halfLds_dp_op_CI_CI_unitstride_sbrr_dirReg
; %bb.0:
	s_clause 0x2
	s_load_b128 s[8:11], s[0:1], 0x0
	s_load_b128 s[4:7], s[0:1], 0x58
	;; [unrolled: 1-line block ×3, first 2 shown]
	v_mul_u32_u24_e32 v1, 0x231, v0
	v_mov_b32_e32 v4, 0
	v_mov_b32_e32 v5, 0
	s_delay_alu instid0(VALU_DEP_3) | instskip(NEXT) | instid1(VALU_DEP_1)
	v_lshrrev_b32_e32 v2, 16, v1
	v_dual_mov_b32 v1, 0 :: v_dual_add_nc_u32 v6, ttmp9, v2
	s_delay_alu instid0(VALU_DEP_1) | instskip(SKIP_2) | instid1(VALU_DEP_1)
	v_mov_b32_e32 v7, v1
	s_wait_kmcnt 0x0
	v_cmp_lt_u64_e64 s2, s[10:11], 2
	s_and_b32 vcc_lo, exec_lo, s2
	s_cbranch_vccnz .LBB0_8
; %bb.1:
	s_load_b64 s[2:3], s[0:1], 0x10
	v_mov_b32_e32 v4, 0
	v_mov_b32_e32 v5, 0
	s_add_nc_u64 s[16:17], s[14:15], 8
	s_add_nc_u64 s[18:19], s[12:13], 8
	s_mov_b64 s[20:21], 1
	s_delay_alu instid0(VALU_DEP_1)
	v_dual_mov_b32 v105, v5 :: v_dual_mov_b32 v104, v4
	s_wait_kmcnt 0x0
	s_add_nc_u64 s[22:23], s[2:3], 8
	s_mov_b32 s3, 0
.LBB0_2:                                ; =>This Inner Loop Header: Depth=1
	s_load_b64 s[24:25], s[22:23], 0x0
                                        ; implicit-def: $vgpr106_vgpr107
	s_mov_b32 s2, exec_lo
	s_wait_kmcnt 0x0
	v_or_b32_e32 v2, s25, v7
	s_delay_alu instid0(VALU_DEP_1)
	v_cmpx_ne_u64_e32 0, v[1:2]
	s_wait_alu 0xfffe
	s_xor_b32 s26, exec_lo, s2
	s_cbranch_execz .LBB0_4
; %bb.3:                                ;   in Loop: Header=BB0_2 Depth=1
	s_cvt_f32_u32 s2, s24
	s_cvt_f32_u32 s27, s25
	s_sub_nc_u64 s[30:31], 0, s[24:25]
	s_wait_alu 0xfffe
	s_delay_alu instid0(SALU_CYCLE_1) | instskip(SKIP_1) | instid1(SALU_CYCLE_2)
	s_fmamk_f32 s2, s27, 0x4f800000, s2
	s_wait_alu 0xfffe
	v_s_rcp_f32 s2, s2
	s_delay_alu instid0(TRANS32_DEP_1) | instskip(SKIP_1) | instid1(SALU_CYCLE_2)
	s_mul_f32 s2, s2, 0x5f7ffffc
	s_wait_alu 0xfffe
	s_mul_f32 s27, s2, 0x2f800000
	s_wait_alu 0xfffe
	s_delay_alu instid0(SALU_CYCLE_2) | instskip(SKIP_1) | instid1(SALU_CYCLE_2)
	s_trunc_f32 s27, s27
	s_wait_alu 0xfffe
	s_fmamk_f32 s2, s27, 0xcf800000, s2
	s_cvt_u32_f32 s29, s27
	s_wait_alu 0xfffe
	s_delay_alu instid0(SALU_CYCLE_1) | instskip(SKIP_1) | instid1(SALU_CYCLE_2)
	s_cvt_u32_f32 s28, s2
	s_wait_alu 0xfffe
	s_mul_u64 s[34:35], s[30:31], s[28:29]
	s_wait_alu 0xfffe
	s_mul_hi_u32 s37, s28, s35
	s_mul_i32 s36, s28, s35
	s_mul_hi_u32 s2, s28, s34
	s_mul_i32 s33, s29, s34
	s_wait_alu 0xfffe
	s_add_nc_u64 s[36:37], s[2:3], s[36:37]
	s_mul_hi_u32 s27, s29, s34
	s_mul_hi_u32 s38, s29, s35
	s_add_co_u32 s2, s36, s33
	s_wait_alu 0xfffe
	s_add_co_ci_u32 s2, s37, s27
	s_mul_i32 s34, s29, s35
	s_add_co_ci_u32 s35, s38, 0
	s_wait_alu 0xfffe
	s_add_nc_u64 s[34:35], s[2:3], s[34:35]
	s_wait_alu 0xfffe
	v_add_co_u32 v2, s2, s28, s34
	s_delay_alu instid0(VALU_DEP_1) | instskip(SKIP_1) | instid1(VALU_DEP_1)
	s_cmp_lg_u32 s2, 0
	s_add_co_ci_u32 s29, s29, s35
	v_readfirstlane_b32 s28, v2
	s_wait_alu 0xfffe
	s_delay_alu instid0(VALU_DEP_1)
	s_mul_u64 s[30:31], s[30:31], s[28:29]
	s_wait_alu 0xfffe
	s_mul_hi_u32 s35, s28, s31
	s_mul_i32 s34, s28, s31
	s_mul_hi_u32 s2, s28, s30
	s_mul_i32 s33, s29, s30
	s_wait_alu 0xfffe
	s_add_nc_u64 s[34:35], s[2:3], s[34:35]
	s_mul_hi_u32 s27, s29, s30
	s_mul_hi_u32 s28, s29, s31
	s_wait_alu 0xfffe
	s_add_co_u32 s2, s34, s33
	s_add_co_ci_u32 s2, s35, s27
	s_mul_i32 s30, s29, s31
	s_add_co_ci_u32 s31, s28, 0
	s_wait_alu 0xfffe
	s_add_nc_u64 s[30:31], s[2:3], s[30:31]
	s_wait_alu 0xfffe
	v_add_co_u32 v8, s2, v2, s30
	s_delay_alu instid0(VALU_DEP_1) | instskip(SKIP_1) | instid1(VALU_DEP_1)
	s_cmp_lg_u32 s2, 0
	s_add_co_ci_u32 s2, s29, s31
	v_mul_hi_u32 v12, v6, v8
	s_wait_alu 0xfffe
	v_mad_co_u64_u32 v[2:3], null, v6, s2, 0
	v_mad_co_u64_u32 v[8:9], null, v7, v8, 0
	;; [unrolled: 1-line block ×3, first 2 shown]
	s_delay_alu instid0(VALU_DEP_3) | instskip(SKIP_1) | instid1(VALU_DEP_4)
	v_add_co_u32 v2, vcc_lo, v12, v2
	s_wait_alu 0xfffd
	v_add_co_ci_u32_e32 v3, vcc_lo, 0, v3, vcc_lo
	s_delay_alu instid0(VALU_DEP_2) | instskip(SKIP_1) | instid1(VALU_DEP_2)
	v_add_co_u32 v2, vcc_lo, v2, v8
	s_wait_alu 0xfffd
	v_add_co_ci_u32_e32 v2, vcc_lo, v3, v9, vcc_lo
	s_wait_alu 0xfffd
	v_add_co_ci_u32_e32 v3, vcc_lo, 0, v11, vcc_lo
	s_delay_alu instid0(VALU_DEP_2) | instskip(SKIP_1) | instid1(VALU_DEP_2)
	v_add_co_u32 v8, vcc_lo, v2, v10
	s_wait_alu 0xfffd
	v_add_co_ci_u32_e32 v9, vcc_lo, 0, v3, vcc_lo
	s_delay_alu instid0(VALU_DEP_2) | instskip(SKIP_1) | instid1(VALU_DEP_3)
	v_mul_lo_u32 v10, s25, v8
	v_mad_co_u64_u32 v[2:3], null, s24, v8, 0
	v_mul_lo_u32 v11, s24, v9
	s_delay_alu instid0(VALU_DEP_2) | instskip(NEXT) | instid1(VALU_DEP_2)
	v_sub_co_u32 v2, vcc_lo, v6, v2
	v_add3_u32 v3, v3, v11, v10
	s_delay_alu instid0(VALU_DEP_1) | instskip(SKIP_1) | instid1(VALU_DEP_1)
	v_sub_nc_u32_e32 v10, v7, v3
	s_wait_alu 0xfffd
	v_subrev_co_ci_u32_e64 v10, s2, s25, v10, vcc_lo
	v_add_co_u32 v11, s2, v8, 2
	s_wait_alu 0xf1ff
	v_add_co_ci_u32_e64 v12, s2, 0, v9, s2
	v_sub_co_u32 v13, s2, v2, s24
	v_sub_co_ci_u32_e32 v3, vcc_lo, v7, v3, vcc_lo
	s_wait_alu 0xf1ff
	v_subrev_co_ci_u32_e64 v10, s2, 0, v10, s2
	s_delay_alu instid0(VALU_DEP_3) | instskip(NEXT) | instid1(VALU_DEP_3)
	v_cmp_le_u32_e32 vcc_lo, s24, v13
	v_cmp_eq_u32_e64 s2, s25, v3
	s_wait_alu 0xfffd
	v_cndmask_b32_e64 v13, 0, -1, vcc_lo
	v_cmp_le_u32_e32 vcc_lo, s25, v10
	s_wait_alu 0xfffd
	v_cndmask_b32_e64 v14, 0, -1, vcc_lo
	v_cmp_le_u32_e32 vcc_lo, s24, v2
	;; [unrolled: 3-line block ×3, first 2 shown]
	s_wait_alu 0xfffd
	v_cndmask_b32_e64 v15, 0, -1, vcc_lo
	v_cmp_eq_u32_e32 vcc_lo, s25, v10
	s_wait_alu 0xf1ff
	s_delay_alu instid0(VALU_DEP_2)
	v_cndmask_b32_e64 v2, v15, v2, s2
	s_wait_alu 0xfffd
	v_cndmask_b32_e32 v10, v14, v13, vcc_lo
	v_add_co_u32 v13, vcc_lo, v8, 1
	s_wait_alu 0xfffd
	v_add_co_ci_u32_e32 v14, vcc_lo, 0, v9, vcc_lo
	s_delay_alu instid0(VALU_DEP_3) | instskip(SKIP_1) | instid1(VALU_DEP_2)
	v_cmp_ne_u32_e32 vcc_lo, 0, v10
	s_wait_alu 0xfffd
	v_dual_cndmask_b32 v3, v14, v12 :: v_dual_cndmask_b32 v10, v13, v11
	v_cmp_ne_u32_e32 vcc_lo, 0, v2
	s_wait_alu 0xfffd
	s_delay_alu instid0(VALU_DEP_2)
	v_dual_cndmask_b32 v107, v9, v3 :: v_dual_cndmask_b32 v106, v8, v10
.LBB0_4:                                ;   in Loop: Header=BB0_2 Depth=1
	s_wait_alu 0xfffe
	s_and_not1_saveexec_b32 s2, s26
	s_cbranch_execz .LBB0_6
; %bb.5:                                ;   in Loop: Header=BB0_2 Depth=1
	v_cvt_f32_u32_e32 v2, s24
	s_sub_co_i32 s26, 0, s24
	v_mov_b32_e32 v107, v1
	s_delay_alu instid0(VALU_DEP_2) | instskip(NEXT) | instid1(TRANS32_DEP_1)
	v_rcp_iflag_f32_e32 v2, v2
	v_mul_f32_e32 v2, 0x4f7ffffe, v2
	s_delay_alu instid0(VALU_DEP_1) | instskip(SKIP_1) | instid1(VALU_DEP_1)
	v_cvt_u32_f32_e32 v2, v2
	s_wait_alu 0xfffe
	v_mul_lo_u32 v3, s26, v2
	s_delay_alu instid0(VALU_DEP_1) | instskip(NEXT) | instid1(VALU_DEP_1)
	v_mul_hi_u32 v3, v2, v3
	v_add_nc_u32_e32 v2, v2, v3
	s_delay_alu instid0(VALU_DEP_1) | instskip(NEXT) | instid1(VALU_DEP_1)
	v_mul_hi_u32 v2, v6, v2
	v_mul_lo_u32 v3, v2, s24
	v_add_nc_u32_e32 v8, 1, v2
	s_delay_alu instid0(VALU_DEP_2) | instskip(NEXT) | instid1(VALU_DEP_1)
	v_sub_nc_u32_e32 v3, v6, v3
	v_subrev_nc_u32_e32 v9, s24, v3
	v_cmp_le_u32_e32 vcc_lo, s24, v3
	s_wait_alu 0xfffd
	s_delay_alu instid0(VALU_DEP_2) | instskip(NEXT) | instid1(VALU_DEP_1)
	v_dual_cndmask_b32 v3, v3, v9 :: v_dual_cndmask_b32 v2, v2, v8
	v_cmp_le_u32_e32 vcc_lo, s24, v3
	s_delay_alu instid0(VALU_DEP_2) | instskip(SKIP_1) | instid1(VALU_DEP_1)
	v_add_nc_u32_e32 v8, 1, v2
	s_wait_alu 0xfffd
	v_cndmask_b32_e32 v106, v2, v8, vcc_lo
.LBB0_6:                                ;   in Loop: Header=BB0_2 Depth=1
	s_wait_alu 0xfffe
	s_or_b32 exec_lo, exec_lo, s2
	v_mul_lo_u32 v8, v107, s24
	s_delay_alu instid0(VALU_DEP_2)
	v_mul_lo_u32 v9, v106, s25
	s_load_b64 s[26:27], s[18:19], 0x0
	v_mad_co_u64_u32 v[2:3], null, v106, s24, 0
	s_load_b64 s[24:25], s[16:17], 0x0
	s_add_nc_u64 s[20:21], s[20:21], 1
	s_add_nc_u64 s[16:17], s[16:17], 8
	s_wait_alu 0xfffe
	v_cmp_ge_u64_e64 s2, s[20:21], s[10:11]
	s_add_nc_u64 s[18:19], s[18:19], 8
	s_add_nc_u64 s[22:23], s[22:23], 8
	v_add3_u32 v3, v3, v9, v8
	v_sub_co_u32 v2, vcc_lo, v6, v2
	s_wait_alu 0xfffd
	s_delay_alu instid0(VALU_DEP_2) | instskip(SKIP_2) | instid1(VALU_DEP_1)
	v_sub_co_ci_u32_e32 v3, vcc_lo, v7, v3, vcc_lo
	s_and_b32 vcc_lo, exec_lo, s2
	s_wait_kmcnt 0x0
	v_mul_lo_u32 v6, s26, v3
	v_mul_lo_u32 v7, s27, v2
	v_mad_co_u64_u32 v[4:5], null, s26, v2, v[4:5]
	v_mul_lo_u32 v3, s24, v3
	v_mul_lo_u32 v8, s25, v2
	v_mad_co_u64_u32 v[104:105], null, s24, v2, v[104:105]
	s_delay_alu instid0(VALU_DEP_4) | instskip(NEXT) | instid1(VALU_DEP_2)
	v_add3_u32 v5, v7, v5, v6
	v_add3_u32 v105, v8, v105, v3
	s_wait_alu 0xfffe
	s_cbranch_vccnz .LBB0_9
; %bb.7:                                ;   in Loop: Header=BB0_2 Depth=1
	v_dual_mov_b32 v6, v106 :: v_dual_mov_b32 v7, v107
	s_branch .LBB0_2
.LBB0_8:
	v_dual_mov_b32 v105, v5 :: v_dual_mov_b32 v104, v4
	v_dual_mov_b32 v107, v7 :: v_dual_mov_b32 v106, v6
.LBB0_9:
	s_load_b64 s[0:1], s[0:1], 0x28
	v_mul_hi_u32 v1, 0x2302303, v0
	s_lshl_b64 s[10:11], s[10:11], 3
                                        ; implicit-def: $vgpr108
	s_wait_alu 0xfffe
	s_add_nc_u64 s[2:3], s[14:15], s[10:11]
	s_wait_kmcnt 0x0
	v_cmp_gt_u64_e32 vcc_lo, s[0:1], v[106:107]
	v_cmp_le_u64_e64 s0, s[0:1], v[106:107]
	s_delay_alu instid0(VALU_DEP_1)
	s_and_saveexec_b32 s1, s0
	s_wait_alu 0xfffe
	s_xor_b32 s0, exec_lo, s1
; %bb.10:
	v_mul_u32_u24_e32 v1, 0x75, v1
                                        ; implicit-def: $vgpr4_vgpr5
	s_delay_alu instid0(VALU_DEP_1)
	v_sub_nc_u32_e32 v108, v0, v1
                                        ; implicit-def: $vgpr1
                                        ; implicit-def: $vgpr0
; %bb.11:
	s_wait_alu 0xfffe
	s_or_saveexec_b32 s1, s0
	s_load_b64 s[2:3], s[2:3], 0x0
                                        ; implicit-def: $vgpr2_vgpr3
                                        ; implicit-def: $vgpr6_vgpr7
                                        ; implicit-def: $vgpr10_vgpr11
                                        ; implicit-def: $vgpr22_vgpr23
                                        ; implicit-def: $vgpr34_vgpr35
                                        ; implicit-def: $vgpr18_vgpr19
                                        ; implicit-def: $vgpr14_vgpr15
                                        ; implicit-def: $vgpr26_vgpr27
                                        ; implicit-def: $vgpr38_vgpr39
                                        ; implicit-def: $vgpr42_vgpr43
                                        ; implicit-def: $vgpr46_vgpr47
                                        ; implicit-def: $vgpr50_vgpr51
                                        ; implicit-def: $vgpr30_vgpr31
                                        ; implicit-def: $vgpr54_vgpr55
                                        ; implicit-def: $vgpr58_vgpr59
                                        ; implicit-def: $vgpr62_vgpr63
                                        ; implicit-def: $vgpr74_vgpr75
                                        ; implicit-def: $vgpr82_vgpr83
                                        ; implicit-def: $vgpr70_vgpr71
                                        ; implicit-def: $vgpr66_vgpr67
                                        ; implicit-def: $vgpr78_vgpr79
                                        ; implicit-def: $vgpr90_vgpr91
                                        ; implicit-def: $vgpr94_vgpr95
                                        ; implicit-def: $vgpr98_vgpr99
                                        ; implicit-def: $vgpr102_vgpr103
                                        ; implicit-def: $vgpr86_vgpr87
	s_xor_b32 exec_lo, exec_lo, s1
	s_cbranch_execz .LBB0_15
; %bb.12:
	s_add_nc_u64 s[10:11], s[12:13], s[10:11]
                                        ; implicit-def: $vgpr28_vgpr29
                                        ; implicit-def: $vgpr48_vgpr49
                                        ; implicit-def: $vgpr44_vgpr45
                                        ; implicit-def: $vgpr40_vgpr41
                                        ; implicit-def: $vgpr36_vgpr37
                                        ; implicit-def: $vgpr24_vgpr25
                                        ; implicit-def: $vgpr12_vgpr13
                                        ; implicit-def: $vgpr16_vgpr17
                                        ; implicit-def: $vgpr32_vgpr33
                                        ; implicit-def: $vgpr20_vgpr21
                                        ; implicit-def: $vgpr8_vgpr9
	s_load_b64 s[10:11], s[10:11], 0x0
	s_wait_kmcnt 0x0
	v_mul_lo_u32 v6, s11, v106
	v_mul_lo_u32 v7, s10, v107
	v_mad_co_u64_u32 v[2:3], null, s10, v106, 0
	s_delay_alu instid0(VALU_DEP_1) | instskip(SKIP_1) | instid1(VALU_DEP_2)
	v_add3_u32 v3, v3, v7, v6
	v_mul_u32_u24_e32 v6, 0x75, v1
	v_lshlrev_b64_e32 v[1:2], 4, v[2:3]
	v_lshlrev_b64_e32 v[3:4], 4, v[4:5]
	s_delay_alu instid0(VALU_DEP_3) | instskip(NEXT) | instid1(VALU_DEP_3)
	v_sub_nc_u32_e32 v108, v0, v6
	v_add_co_u32 v0, s0, s4, v1
	s_wait_alu 0xf1ff
	s_delay_alu instid0(VALU_DEP_4) | instskip(NEXT) | instid1(VALU_DEP_3)
	v_add_co_ci_u32_e64 v1, s0, s5, v2, s0
	v_lshlrev_b32_e32 v2, 4, v108
	s_delay_alu instid0(VALU_DEP_3) | instskip(SKIP_1) | instid1(VALU_DEP_3)
	v_add_co_u32 v0, s0, v0, v3
	s_wait_alu 0xf1ff
	v_add_co_ci_u32_e64 v1, s0, v1, v4, s0
	s_mov_b32 s4, exec_lo
	s_delay_alu instid0(VALU_DEP_2) | instskip(SKIP_1) | instid1(VALU_DEP_2)
	v_add_co_u32 v2, s0, v0, v2
	s_wait_alu 0xf1ff
	v_add_co_ci_u32_e64 v3, s0, 0, v1, s0
                                        ; implicit-def: $vgpr4_vgpr5
                                        ; implicit-def: $vgpr0_vgpr1
	s_clause 0xc
	global_load_b128 v[84:87], v[2:3], off
	global_load_b128 v[100:103], v[2:3], off offset:2160
	global_load_b128 v[96:99], v[2:3], off offset:4320
	;; [unrolled: 1-line block ×12, first 2 shown]
	v_cmpx_gt_u32_e32 18, v108
; %bb.13:
	s_clause 0xc
	global_load_b128 v[28:31], v[2:3], off offset:1872
	global_load_b128 v[48:51], v[2:3], off offset:4032
	;; [unrolled: 1-line block ×13, first 2 shown]
; %bb.14:
	s_wait_alu 0xfffe
	s_or_b32 exec_lo, exec_lo, s4
.LBB0_15:
	s_delay_alu instid0(SALU_CYCLE_1)
	s_or_b32 exec_lo, exec_lo, s1
	s_wait_loadcnt 0xb
	v_add_f64_e32 v[109:110], v[100:101], v[84:85]
	s_wait_loadcnt 0x0
	v_add_f64_e64 v[111:112], v[102:103], -v[54:55]
	s_mov_b32 s44, 0x4267c47c
	s_mov_b32 s30, 0x42a4c3d2
	;; [unrolled: 1-line block ×10, first 2 shown]
	v_add_f64_e64 v[113:114], v[98:99], -v[58:59]
	v_add_f64_e32 v[115:116], v[52:53], v[100:101]
	s_mov_b32 s36, 0x66966769
	s_mov_b32 s37, 0xbfefc445
	;; [unrolled: 1-line block ×13, first 2 shown]
	s_wait_alu 0xfffe
	s_mov_b32 s40, s24
	s_mov_b32 s22, s36
	;; [unrolled: 1-line block ×5, first 2 shown]
	v_add_f64_e64 v[127:128], v[94:95], -v[62:63]
	v_add_f64_e32 v[129:130], v[56:57], v[96:97]
	s_mov_b32 s4, 0xebaa3ed8
	s_mov_b32 s5, 0x3fbedb7d
	;; [unrolled: 1-line block ×4, first 2 shown]
	v_add_f64_e32 v[109:110], v[96:97], v[109:110]
	v_mul_f64_e32 v[117:118], s[44:45], v[111:112]
	v_mul_f64_e32 v[119:120], s[30:31], v[111:112]
	;; [unrolled: 1-line block ×6, first 2 shown]
	v_add_f64_e64 v[153:154], v[90:91], -v[74:75]
	s_mov_b32 s39, 0x3fcea1e5
	s_mov_b32 s38, s26
	;; [unrolled: 1-line block ×4, first 2 shown]
	v_mul_f64_e32 v[131:132], s[30:31], v[113:114]
	v_mul_f64_e32 v[133:134], s[20:21], v[113:114]
	v_mul_f64_e32 v[135:136], s[26:27], v[113:114]
	v_mul_f64_e32 v[137:138], s[40:41], v[113:114]
	v_mul_f64_e32 v[139:140], s[22:23], v[113:114]
	s_wait_alu 0xfffe
	v_mul_f64_e32 v[113:114], s[28:29], v[113:114]
	v_cmp_gt_u32_e64 s0, 18, v108
	v_mul_f64_e32 v[155:156], s[36:37], v[127:128]
	v_mul_f64_e32 v[157:158], s[26:27], v[127:128]
	v_mul_f64_e32 v[159:160], s[42:43], v[127:128]
	v_mul_f64_e32 v[161:162], s[28:29], v[127:128]
	v_mul_f64_e32 v[163:164], s[30:31], v[127:128]
	v_mul_f64_e32 v[127:128], s[24:25], v[127:128]
	v_add_f64_e32 v[109:110], v[92:93], v[109:110]
	v_fma_f64 v[141:142], v[115:116], s[10:11], v[117:118]
	v_fma_f64 v[143:144], v[115:116], s[12:13], v[119:120]
	v_fma_f64 v[119:120], v[115:116], s[12:13], -v[119:120]
	v_fma_f64 v[145:146], v[115:116], s[14:15], v[121:122]
	v_fma_f64 v[121:122], v[115:116], s[14:15], -v[121:122]
	v_fma_f64 v[147:148], v[115:116], s[16:17], v[123:124]
	v_fma_f64 v[149:150], v[115:116], s[18:19], v[125:126]
	v_fma_f64 v[125:126], v[115:116], s[18:19], -v[125:126]
	v_fma_f64 v[123:124], v[115:116], s[16:17], -v[123:124]
	;; [unrolled: 1-line block ×3, first 2 shown]
	v_fma_f64 v[111:112], v[115:116], s[4:5], v[111:112]
	v_fma_f64 v[115:116], v[115:116], s[10:11], -v[117:118]
	v_add_f64_e32 v[117:118], v[60:61], v[92:93]
	v_fma_f64 v[165:166], v[129:130], s[12:13], v[131:132]
	v_fma_f64 v[131:132], v[129:130], s[12:13], -v[131:132]
	v_fma_f64 v[167:168], v[129:130], s[14:15], v[133:134]
	v_fma_f64 v[133:134], v[129:130], s[14:15], -v[133:134]
	;; [unrolled: 2-line block ×6, first 2 shown]
	v_mul_f64_e32 v[177:178], s[20:21], v[153:154]
	v_mul_f64_e32 v[179:180], s[40:41], v[153:154]
	;; [unrolled: 1-line block ×6, first 2 shown]
	v_add_f64_e32 v[109:110], v[88:89], v[109:110]
	v_add_f64_e32 v[129:130], v[84:85], v[141:142]
	v_add_f64_e32 v[141:142], v[84:85], v[143:144]
	v_add_f64_e32 v[119:120], v[84:85], v[119:120]
	v_add_f64_e32 v[143:144], v[84:85], v[145:146]
	v_add_f64_e32 v[121:122], v[84:85], v[121:122]
	v_add_f64_e32 v[145:146], v[84:85], v[147:148]
	v_add_f64_e32 v[147:148], v[84:85], v[149:150]
	v_add_f64_e32 v[125:126], v[84:85], v[125:126]
	v_add_f64_e32 v[123:124], v[84:85], v[123:124]
	v_add_f64_e32 v[149:150], v[84:85], v[151:152]
	v_add_f64_e32 v[111:112], v[84:85], v[111:112]
	v_add_f64_e32 v[84:85], v[84:85], v[115:116]
	v_add_f64_e32 v[115:116], v[72:73], v[88:89]
	v_add_f64_e64 v[151:152], v[78:79], -v[82:83]
	v_fma_f64 v[187:188], v[117:118], s[4:5], v[155:156]
	v_fma_f64 v[155:156], v[117:118], s[4:5], -v[155:156]
	v_fma_f64 v[189:190], v[117:118], s[18:19], v[157:158]
	v_fma_f64 v[157:158], v[117:118], s[18:19], -v[157:158]
	;; [unrolled: 2-line block ×6, first 2 shown]
	v_add_f64_e32 v[109:110], v[76:77], v[109:110]
	v_add_f64_e32 v[127:128], v[165:166], v[129:130]
	;; [unrolled: 1-line block ×14, first 2 shown]
	v_add_f64_e64 v[135:136], v[66:67], -v[70:71]
	v_mul_f64_e32 v[139:140], s[24:25], v[151:152]
	v_mul_f64_e32 v[143:144], s[22:23], v[151:152]
	;; [unrolled: 1-line block ×4, first 2 shown]
	v_fma_f64 v[165:166], v[115:116], s[14:15], v[177:178]
	v_fma_f64 v[167:168], v[115:116], s[14:15], -v[177:178]
	v_fma_f64 v[169:170], v[115:116], s[16:17], v[179:180]
	v_fma_f64 v[173:174], v[115:116], s[10:11], v[181:182]
	v_fma_f64 v[175:176], v[115:116], s[10:11], -v[181:182]
	v_fma_f64 v[177:178], v[115:116], s[4:5], v[183:184]
	v_fma_f64 v[181:182], v[115:116], s[18:19], v[185:186]
	v_mul_f64_e32 v[145:146], s[30:31], v[151:152]
	v_mul_f64_e32 v[151:152], s[20:21], v[151:152]
	v_fma_f64 v[171:172], v[115:116], s[16:17], -v[179:180]
	v_fma_f64 v[179:180], v[115:116], s[4:5], -v[183:184]
	;; [unrolled: 1-line block ×3, first 2 shown]
	v_fma_f64 v[185:186], v[115:116], s[12:13], v[153:154]
	v_fma_f64 v[115:116], v[115:116], s[12:13], -v[153:154]
	v_add_f64_e32 v[109:110], v[64:65], v[109:110]
	v_add_f64_e32 v[127:128], v[187:188], v[127:128]
	;; [unrolled: 1-line block ×14, first 2 shown]
	v_mul_f64_e32 v[153:154], s[26:27], v[135:136]
	v_mul_f64_e32 v[155:156], s[28:29], v[135:136]
	;; [unrolled: 1-line block ×6, first 2 shown]
	v_fma_f64 v[163:164], v[131:132], s[16:17], v[139:140]
	v_fma_f64 v[187:188], v[131:132], s[4:5], v[143:144]
	;; [unrolled: 1-line block ×4, first 2 shown]
	v_fma_f64 v[139:140], v[131:132], s[16:17], -v[139:140]
	v_fma_f64 v[143:144], v[131:132], s[4:5], -v[143:144]
	v_fma_f64 v[189:190], v[131:132], s[12:13], v[145:146]
	v_fma_f64 v[145:146], v[131:132], s[12:13], -v[145:146]
	v_fma_f64 v[147:148], v[131:132], s[18:19], -v[147:148]
	;; [unrolled: 1-line block ×3, first 2 shown]
	v_fma_f64 v[195:196], v[131:132], s[14:15], v[151:152]
	v_fma_f64 v[131:132], v[131:132], s[14:15], -v[151:152]
	v_add_f64_e32 v[109:110], v[68:69], v[109:110]
	v_add_f64_e32 v[127:128], v[165:166], v[127:128]
	;; [unrolled: 1-line block ×13, first 2 shown]
	v_fma_f64 v[123:124], v[125:126], s[18:19], v[153:154]
	v_fma_f64 v[151:152], v[125:126], s[18:19], -v[153:154]
	v_fma_f64 v[153:154], v[125:126], s[10:11], v[155:156]
	v_fma_f64 v[155:156], v[125:126], s[10:11], -v[155:156]
	;; [unrolled: 2-line block ×6, first 2 shown]
	v_add_f64_e32 v[109:110], v[80:81], v[109:110]
	v_add_f64_e32 v[127:128], v[163:164], v[127:128]
	v_add_f64_e32 v[129:130], v[187:188], v[129:130]
	v_add_f64_e32 v[119:120], v[143:144], v[119:120]
	v_add_f64_e32 v[133:134], v[191:192], v[133:134]
	v_add_f64_e32 v[121:122], v[147:148], v[121:122]
	v_add_f64_e32 v[135:136], v[193:194], v[137:138]
	v_add_f64_e32 v[137:138], v[195:196], v[141:142]
	v_add_f64_e32 v[113:114], v[131:132], v[113:114]
	v_add_f64_e32 v[115:116], v[149:150], v[115:116]
	v_add_f64_e32 v[117:118], v[145:146], v[117:118]
	v_add_f64_e32 v[111:112], v[189:190], v[111:112]
	v_add_f64_e32 v[84:85], v[139:140], v[84:85]
	v_add_f64_e32 v[109:110], v[72:73], v[109:110]
	v_add_f64_e32 v[123:124], v[123:124], v[127:128]
	v_add_f64_e32 v[127:128], v[153:154], v[129:130]
	v_add_f64_e32 v[119:120], v[155:156], v[119:120]
	v_add_f64_e32 v[129:130], v[167:168], v[133:134]
	v_add_f64_e32 v[121:122], v[159:160], v[121:122]
	v_add_f64_e32 v[131:132], v[169:170], v[135:136]
	v_add_f64_e32 v[133:134], v[171:172], v[137:138]
	v_add_f64_e32 v[113:114], v[125:126], v[113:114]
	v_add_f64_e32 v[115:116], v[161:162], v[115:116]
	v_add_f64_e32 v[117:118], v[157:158], v[117:118]
	v_add_f64_e32 v[111:112], v[165:166], v[111:112]
	v_add_f64_e32 v[84:85], v[151:152], v[84:85]
	v_add_f64_e32 v[109:110], v[60:61], v[109:110]
	s_delay_alu instid0(VALU_DEP_1) | instskip(NEXT) | instid1(VALU_DEP_1)
	v_add_f64_e32 v[109:110], v[56:57], v[109:110]
	v_add_f64_e32 v[125:126], v[52:53], v[109:110]
	v_mad_u32_u24 v109, 0x68, v108, 0
	ds_store_2addr_b64 v109, v[129:130], v[131:132] offset0:4 offset1:5
	ds_store_2addr_b64 v109, v[133:134], v[113:114] offset0:6 offset1:7
	;; [unrolled: 1-line block ×5, first 2 shown]
	ds_store_2addr_b64 v109, v[125:126], v[123:124] offset1:1
	ds_store_b64 v109, v[84:85] offset:96
	s_and_saveexec_b32 s1, s0
	s_cbranch_execz .LBB0_17
; %bb.16:
	v_add_f64_e32 v[84:85], v[48:49], v[28:29]
	v_add_f64_e32 v[110:111], v[0:1], v[48:49]
	;; [unrolled: 1-line block ×3, first 2 shown]
	v_add_f64_e64 v[114:115], v[50:51], -v[2:3]
	v_add_f64_e32 v[126:127], v[8:9], v[40:41]
	v_add_f64_e64 v[128:129], v[46:47], -v[6:7]
	v_add_f64_e64 v[152:153], v[42:43], -v[10:11]
	v_add_f64_e32 v[84:85], v[44:45], v[84:85]
	v_mul_f64_e32 v[116:117], s[18:19], v[110:111]
	v_mul_f64_e32 v[118:119], s[16:17], v[110:111]
	;; [unrolled: 1-line block ×18, first 2 shown]
	v_add_f64_e32 v[84:85], v[40:41], v[84:85]
	v_fma_f64 v[140:141], v[114:115], s[38:39], v[116:117]
	v_fma_f64 v[116:117], v[114:115], s[26:27], v[116:117]
	;; [unrolled: 1-line block ×12, first 2 shown]
	v_add_f64_e32 v[114:115], v[20:21], v[36:37]
	v_fma_f64 v[164:165], v[128:129], s[44:45], v[130:131]
	v_fma_f64 v[130:131], v[128:129], s[28:29], v[130:131]
	;; [unrolled: 1-line block ×24, first 2 shown]
	v_add_f64_e32 v[84:85], v[36:37], v[84:85]
	v_add_f64_e32 v[128:129], v[28:29], v[140:141]
	;; [unrolled: 1-line block ×14, first 2 shown]
	v_add_f64_e64 v[150:151], v[38:39], -v[22:23]
	v_mul_f64_e32 v[176:177], s[12:13], v[114:115]
	v_mul_f64_e32 v[178:179], s[18:19], v[114:115]
	;; [unrolled: 1-line block ×6, first 2 shown]
	v_add_f64_e32 v[84:85], v[24:25], v[84:85]
	v_add_f64_e32 v[128:129], v[164:165], v[128:129]
	;; [unrolled: 1-line block ×14, first 2 shown]
	v_add_f64_e64 v[140:141], v[26:27], -v[34:35]
	v_mul_f64_e32 v[142:143], s[14:15], v[110:111]
	v_mul_f64_e32 v[144:145], s[10:11], v[110:111]
	;; [unrolled: 1-line block ×5, first 2 shown]
	v_fma_f64 v[164:165], v[150:151], s[30:31], v[176:177]
	v_fma_f64 v[166:167], v[150:151], s[34:35], v[176:177]
	;; [unrolled: 1-line block ×10, first 2 shown]
	v_mul_f64_e32 v[110:111], s[16:17], v[110:111]
	v_fma_f64 v[184:185], v[150:151], s[42:43], v[114:115]
	v_fma_f64 v[114:115], v[150:151], s[20:21], v[114:115]
	v_add_f64_e32 v[84:85], v[12:13], v[84:85]
	v_add_f64_e32 v[128:129], v[186:187], v[128:129]
	;; [unrolled: 1-line block ×13, first 2 shown]
	v_add_f64_e64 v[126:127], v[14:15], -v[18:19]
	v_mul_f64_e32 v[150:151], s[4:5], v[134:135]
	v_mul_f64_e32 v[154:155], s[14:15], v[134:135]
	;; [unrolled: 1-line block ×6, first 2 shown]
	v_fma_f64 v[162:163], v[140:141], s[42:43], v[142:143]
	v_fma_f64 v[142:143], v[140:141], s[20:21], v[142:143]
	;; [unrolled: 1-line block ×12, first 2 shown]
	v_add_f64_e32 v[84:85], v[16:17], v[84:85]
	v_add_f64_e32 v[128:129], v[164:165], v[128:129]
	;; [unrolled: 1-line block ×13, first 2 shown]
	v_fma_f64 v[114:115], v[126:127], s[36:37], v[150:151]
	v_fma_f64 v[140:141], v[126:127], s[22:23], v[150:151]
	;; [unrolled: 1-line block ×12, first 2 shown]
	v_add_f64_e32 v[84:85], v[32:33], v[84:85]
	v_add_f64_e32 v[128:129], v[162:163], v[128:129]
	;; [unrolled: 1-line block ×26, first 2 shown]
	v_add_nc_u32_e32 v127, 0x2f98, v109
	v_add_nc_u32_e32 v134, 0x2fa8, v109
	;; [unrolled: 1-line block ×6, first 2 shown]
	v_add_f64_e32 v[84:85], v[8:9], v[84:85]
	s_delay_alu instid0(VALU_DEP_1) | instskip(NEXT) | instid1(VALU_DEP_1)
	v_add_f64_e32 v[84:85], v[4:5], v[84:85]
	v_add_f64_e32 v[84:85], v[0:1], v[84:85]
	ds_store_2addr_b64 v127, v[132:133], v[130:131] offset1:1
	ds_store_2addr_b64 v134, v[120:121], v[118:119] offset1:1
	;; [unrolled: 1-line block ×6, first 2 shown]
	ds_store_b64 v109, v[28:29] offset:12264
.LBB0_17:
	s_wait_alu 0xfffe
	s_or_b32 exec_lo, exec_lo, s1
	v_add_f64_e32 v[28:29], v[102:103], v[86:87]
	v_add_f64_e64 v[52:53], v[100:101], -v[52:53]
	v_add_f64_e64 v[56:57], v[96:97], -v[56:57]
	v_add_f64_e32 v[84:85], v[54:55], v[102:103]
	v_add_f64_e64 v[60:61], v[92:93], -v[60:61]
	v_add_f64_e32 v[92:93], v[58:59], v[98:99]
	v_add_f64_e64 v[72:73], v[88:89], -v[72:73]
	v_add_f64_e64 v[76:77], v[76:77], -v[80:81]
	;; [unrolled: 1-line block ×3, first 2 shown]
	global_wb scope:SCOPE_SE
	s_wait_dscnt 0x0
	s_wait_kmcnt 0x0
	s_barrier_signal -1
	s_barrier_wait -1
	global_inv scope:SCOPE_SE
	v_add_f64_e32 v[28:29], v[98:99], v[28:29]
	v_mul_f64_e32 v[96:97], s[44:45], v[52:53]
	v_mul_f64_e32 v[100:101], s[30:31], v[52:53]
	;; [unrolled: 1-line block ×20, first 2 shown]
	v_add_f64_e32 v[28:29], v[94:95], v[28:29]
	v_fma_f64 v[122:123], v[84:85], s[10:11], -v[96:97]
	v_fma_f64 v[124:125], v[84:85], s[12:13], -v[100:101]
	v_fma_f64 v[100:101], v[84:85], s[12:13], v[100:101]
	v_fma_f64 v[126:127], v[84:85], s[14:15], -v[102:103]
	v_fma_f64 v[102:103], v[84:85], s[14:15], v[102:103]
	v_fma_f64 v[128:129], v[84:85], s[16:17], -v[110:111]
	v_fma_f64 v[130:131], v[84:85], s[18:19], -v[112:113]
	v_fma_f64 v[112:113], v[84:85], s[18:19], v[112:113]
	v_fma_f64 v[110:111], v[84:85], s[16:17], v[110:111]
	;; [unrolled: 1-line block ×3, first 2 shown]
	v_fma_f64 v[52:53], v[84:85], s[4:5], -v[52:53]
	v_fma_f64 v[84:85], v[84:85], s[10:11], v[96:97]
	v_add_f64_e32 v[94:95], v[62:63], v[94:95]
	v_mul_f64_e32 v[96:97], s[26:27], v[60:61]
	v_mul_f64_e32 v[60:61], s[24:25], v[60:61]
	v_fma_f64 v[140:141], v[92:93], s[12:13], -v[98:99]
	v_fma_f64 v[98:99], v[92:93], s[12:13], v[98:99]
	v_fma_f64 v[142:143], v[92:93], s[14:15], -v[114:115]
	v_fma_f64 v[114:115], v[92:93], s[14:15], v[114:115]
	;; [unrolled: 2-line block ×6, first 2 shown]
	v_add_f64_e32 v[28:29], v[90:91], v[28:29]
	v_add_f64_e32 v[92:93], v[86:87], v[122:123]
	;; [unrolled: 1-line block ×14, first 2 shown]
	v_mul_f64_e32 v[90:91], s[40:41], v[72:73]
	v_mul_f64_e32 v[132:133], s[28:29], v[72:73]
	;; [unrolled: 1-line block ×3, first 2 shown]
	v_fma_f64 v[156:157], v[94:95], s[4:5], -v[88:89]
	v_fma_f64 v[88:89], v[94:95], s[4:5], v[88:89]
	v_fma_f64 v[158:159], v[94:95], s[18:19], -v[96:97]
	v_fma_f64 v[96:97], v[94:95], s[18:19], v[96:97]
	;; [unrolled: 2-line block ×6, first 2 shown]
	v_add_f64_e32 v[28:29], v[78:79], v[28:29]
	v_add_f64_e32 v[92:93], v[140:141], v[92:93]
	;; [unrolled: 1-line block ×14, first 2 shown]
	v_mul_f64_e32 v[98:99], s[30:31], v[76:77]
	v_mul_f64_e32 v[116:117], s[38:39], v[76:77]
	;; [unrolled: 1-line block ×3, first 2 shown]
	v_fma_f64 v[124:125], v[86:87], s[14:15], -v[80:81]
	v_fma_f64 v[80:81], v[86:87], s[14:15], v[80:81]
	v_fma_f64 v[126:127], v[86:87], s[16:17], -v[90:91]
	v_fma_f64 v[90:91], v[86:87], s[16:17], v[90:91]
	;; [unrolled: 2-line block ×6, first 2 shown]
	v_add_f64_e32 v[28:29], v[66:67], v[28:29]
	v_add_f64_e32 v[86:87], v[156:157], v[92:93]
	;; [unrolled: 1-line block ×13, first 2 shown]
	v_mul_f64_e32 v[112:113], s[34:35], v[64:65]
	v_mul_f64_e32 v[118:119], s[20:21], v[64:65]
	v_fma_f64 v[122:123], v[78:79], s[16:17], -v[68:69]
	v_fma_f64 v[68:69], v[78:79], s[16:17], v[68:69]
	v_fma_f64 v[136:137], v[78:79], s[12:13], -v[98:99]
	v_fma_f64 v[98:99], v[78:79], s[12:13], v[98:99]
	;; [unrolled: 2-line block ×4, first 2 shown]
	v_add_f64_e32 v[28:29], v[70:71], v[28:29]
	v_mul_f64_e32 v[70:71], s[26:27], v[64:65]
	v_add_f64_e32 v[90:91], v[90:91], v[94:95]
	v_add_f64_e32 v[94:95], v[140:141], v[100:101]
	;; [unrolled: 1-line block ×7, first 2 shown]
	v_fma_f64 v[110:111], v[66:67], s[12:13], -v[112:113]
	v_fma_f64 v[112:113], v[66:67], s[12:13], v[112:113]
	v_fma_f64 v[114:115], v[66:67], s[14:15], -v[118:119]
	v_fma_f64 v[118:119], v[66:67], s[14:15], v[118:119]
	v_add_f64_e32 v[28:29], v[82:83], v[28:29]
	v_mul_f64_e32 v[82:83], s[22:23], v[76:77]
	v_mul_f64_e32 v[76:77], s[20:21], v[76:77]
	v_add_f64_e32 v[60:61], v[120:121], v[60:61]
	v_add_f64_e32 v[72:73], v[98:99], v[72:73]
	;; [unrolled: 1-line block ×5, first 2 shown]
	v_mul_f64_e32 v[84:85], s[28:29], v[64:65]
	v_mul_f64_e32 v[88:89], s[24:25], v[64:65]
	;; [unrolled: 1-line block ×3, first 2 shown]
	v_fma_f64 v[134:135], v[78:79], s[4:5], -v[82:83]
	v_fma_f64 v[82:83], v[78:79], s[4:5], v[82:83]
	v_fma_f64 v[150:151], v[78:79], s[14:15], -v[76:77]
	v_fma_f64 v[76:77], v[78:79], s[14:15], v[76:77]
	v_add_f64_e32 v[78:79], v[124:125], v[86:87]
	v_add_f64_e32 v[86:87], v[126:127], v[92:93]
	;; [unrolled: 1-line block ×6, first 2 shown]
	v_fma_f64 v[74:75], v[66:67], s[18:19], -v[70:71]
	v_fma_f64 v[70:71], v[66:67], s[18:19], v[70:71]
	v_fma_f64 v[80:81], v[66:67], s[10:11], -v[84:85]
	v_fma_f64 v[84:85], v[66:67], s[10:11], v[84:85]
	;; [unrolled: 2-line block ×4, first 2 shown]
	v_add_f64_e32 v[66:67], v[122:123], v[78:79]
	v_add_f64_e32 v[78:79], v[134:135], v[86:87]
	;; [unrolled: 1-line block ×21, first 2 shown]
	v_mad_i32_i24 v80, 0xffffffa0, v108, v109
	v_add_nc_u32_e32 v81, 0x75, v108
	s_delay_alu instid0(VALU_DEP_2)
	v_add_nc_u32_e32 v82, 0xc00, v80
	v_add_nc_u32_e32 v84, 0x2400, v80
	;; [unrolled: 1-line block ×6, first 2 shown]
	v_add_f64_e32 v[116:117], v[54:55], v[28:29]
	v_add_f64_e32 v[118:119], v[70:71], v[58:59]
	ds_load_2addr_b64 v[52:55], v80 offset1:117
	ds_load_b64 v[28:29], v80 offset:13104
	ds_load_2addr_b64 v[56:59], v82 offset0:84 offset1:201
	ds_load_2addr_b64 v[76:79], v84 offset0:18 offset1:135
	;; [unrolled: 1-line block ×6, first 2 shown]
	global_wb scope:SCOPE_SE
	s_wait_dscnt 0x0
	s_barrier_signal -1
	s_barrier_wait -1
	global_inv scope:SCOPE_SE
	ds_store_2addr_b64 v109, v[110:111], v[92:93] offset0:4 offset1:5
	ds_store_2addr_b64 v109, v[94:95], v[112:113] offset0:6 offset1:7
	;; [unrolled: 1-line block ×4, first 2 shown]
	ds_store_2addr_b64 v109, v[116:117], v[96:97] offset1:1
	ds_store_2addr_b64 v109, v[98:99], v[102:103] offset0:2 offset1:3
	ds_store_b64 v109, v[118:119] offset:96
	s_and_saveexec_b32 s33, s0
	s_cbranch_execz .LBB0_19
; %bb.18:
	v_add_f64_e32 v[88:89], v[50:51], v[30:31]
	v_add_f64_e64 v[0:1], v[48:49], -v[0:1]
	s_mov_b32 s28, 0x42a4c3d2
	s_mov_b32 s14, 0x2ef20147
	;; [unrolled: 1-line block ×10, first 2 shown]
	v_add_f64_e64 v[4:5], v[44:45], -v[4:5]
	v_add_f64_e32 v[44:45], v[2:3], v[50:51]
	s_mov_b32 s30, 0x66966769
	s_mov_b32 s31, 0xbfefc445
	;; [unrolled: 1-line block ×12, first 2 shown]
	s_wait_alu 0xfffe
	s_mov_b32 s34, s20
	s_mov_b32 s26, s30
	;; [unrolled: 1-line block ×4, first 2 shown]
	v_add_f64_e64 v[8:9], v[40:41], -v[8:9]
	v_add_f64_e32 v[40:41], v[6:7], v[46:47]
	s_mov_b32 s37, 0x3fedeba7
	s_mov_b32 s36, s14
	v_add_f64_e64 v[20:21], v[36:37], -v[20:21]
	s_mov_b32 s38, s24
	v_add_f64_e64 v[24:25], v[24:25], -v[32:33]
	v_add_f64_e64 v[12:13], v[12:13], -v[16:17]
	v_add_f64_e32 v[88:89], v[46:47], v[88:89]
	v_mul_f64_e32 v[50:51], s[12:13], v[0:1]
	v_mul_f64_e32 v[90:91], s[14:15], v[0:1]
	;; [unrolled: 1-line block ×4, first 2 shown]
	s_mov_b32 s13, 0x3fddbe06
	v_mul_f64_e32 v[46:47], s[28:29], v[4:5]
	v_mul_f64_e32 v[96:97], s[14:15], v[4:5]
	;; [unrolled: 1-line block ×3, first 2 shown]
	s_wait_alu 0xfffe
	v_mul_f64_e32 v[100:101], s[34:35], v[4:5]
	v_mul_f64_e32 v[102:103], s[26:27], v[4:5]
	;; [unrolled: 1-line block ×7, first 2 shown]
	s_mov_b32 s37, 0x3fea55e2
	s_mov_b32 s36, s28
	v_mul_f64_e32 v[32:33], s[14:15], v[20:21]
	v_mul_f64_e32 v[139:140], s[38:39], v[20:21]
	v_add_f64_e32 v[88:89], v[42:43], v[88:89]
	v_fma_f64 v[109:110], v[44:45], s[0:1], -v[50:51]
	v_fma_f64 v[113:114], v[44:45], s[16:17], -v[90:91]
	v_fma_f64 v[90:91], v[44:45], s[16:17], v[90:91]
	v_fma_f64 v[115:116], v[44:45], s[18:19], -v[92:93]
	v_fma_f64 v[117:118], v[44:45], s[22:23], -v[94:95]
	v_fma_f64 v[94:95], v[44:45], s[22:23], v[94:95]
	v_fma_f64 v[92:93], v[44:45], s[18:19], v[92:93]
	v_add_f64_e32 v[42:43], v[10:11], v[42:43]
	s_wait_alu 0xfffe
	v_mul_f64_e32 v[141:142], s[36:37], v[20:21]
	v_mul_f64_e32 v[16:17], s[20:21], v[24:25]
	v_fma_f64 v[127:128], v[40:41], s[10:11], -v[46:47]
	v_fma_f64 v[46:47], v[40:41], s[10:11], v[46:47]
	v_fma_f64 v[129:130], v[40:41], s[16:17], -v[96:97]
	v_fma_f64 v[96:97], v[40:41], s[16:17], v[96:97]
	v_fma_f64 v[131:132], v[40:41], s[22:23], -v[98:99]
	v_fma_f64 v[98:99], v[40:41], s[22:23], v[98:99]
	v_fma_f64 v[133:134], v[40:41], s[18:19], -v[100:101]
	v_fma_f64 v[100:101], v[40:41], s[18:19], v[100:101]
	v_fma_f64 v[135:136], v[40:41], s[4:5], -v[102:103]
	v_fma_f64 v[102:103], v[40:41], s[4:5], v[102:103]
	v_fma_f64 v[137:138], v[40:41], s[0:1], -v[4:5]
	v_fma_f64 v[4:5], v[40:41], s[0:1], v[4:5]
	v_add_f64_e32 v[48:49], v[38:39], v[88:89]
	v_mul_f64_e32 v[88:89], s[28:29], v[0:1]
	v_mul_f64_e32 v[0:1], s[30:31], v[0:1]
	v_add_f64_e32 v[40:41], v[30:31], v[109:110]
	v_add_f64_e32 v[90:91], v[30:31], v[90:91]
	;; [unrolled: 1-line block ×5, first 2 shown]
	v_fma_f64 v[143:144], v[42:43], s[4:5], -v[36:37]
	v_fma_f64 v[36:37], v[42:43], s[4:5], v[36:37]
	v_fma_f64 v[147:148], v[42:43], s[16:17], -v[121:122]
	v_fma_f64 v[121:122], v[42:43], s[16:17], v[121:122]
	;; [unrolled: 2-line block ×4, first 2 shown]
	v_add_f64_e32 v[48:49], v[26:27], v[48:49]
	v_fma_f64 v[111:112], v[44:45], s[10:11], -v[88:89]
	v_fma_f64 v[88:89], v[44:45], s[10:11], v[88:89]
	v_fma_f64 v[119:120], v[44:45], s[4:5], v[0:1]
	v_fma_f64 v[0:1], v[44:45], s[4:5], -v[0:1]
	v_fma_f64 v[44:45], v[44:45], s[0:1], v[50:51]
	v_mul_f64_e32 v[50:51], s[24:25], v[8:9]
	v_mul_f64_e32 v[8:9], s[12:13], v[8:9]
	v_add_f64_e32 v[40:41], v[127:128], v[40:41]
	v_add_f64_e32 v[90:91], v[100:101], v[90:91]
	;; [unrolled: 1-line block ×5, first 2 shown]
	v_mul_f64_e32 v[102:103], s[14:15], v[24:25]
	v_fma_f64 v[127:128], v[38:39], s[22:23], v[139:140]
	v_add_f64_e32 v[48:49], v[14:15], v[48:49]
	v_add_f64_e32 v[109:110], v[30:31], v[111:112]
	;; [unrolled: 1-line block ×9, first 2 shown]
	v_mul_f64_e32 v[44:45], s[34:35], v[20:21]
	v_mul_f64_e32 v[119:120], s[30:31], v[20:21]
	;; [unrolled: 1-line block ×3, first 2 shown]
	v_fma_f64 v[145:146], v[42:43], s[22:23], -v[50:51]
	v_fma_f64 v[50:51], v[42:43], s[22:23], v[50:51]
	v_fma_f64 v[153:154], v[42:43], s[0:1], -v[8:9]
	v_fma_f64 v[8:9], v[42:43], s[0:1], v[8:9]
	v_add_f64_e32 v[4:5], v[125:126], v[4:5]
	v_add_f64_e32 v[92:93], v[123:124], v[92:93]
	;; [unrolled: 1-line block ×12, first 2 shown]
	v_mul_f64_e32 v[46:47], s[28:29], v[24:25]
	v_mul_f64_e32 v[98:99], s[38:39], v[24:25]
	v_fma_f64 v[111:112], v[38:39], s[16:17], -v[32:33]
	v_fma_f64 v[32:33], v[38:39], s[16:17], v[32:33]
	v_fma_f64 v[113:114], v[38:39], s[18:19], -v[44:45]
	v_fma_f64 v[44:45], v[38:39], s[18:19], v[44:45]
	;; [unrolled: 2-line block ×3, first 2 shown]
	v_fma_f64 v[119:120], v[38:39], s[22:23], -v[139:140]
	v_fma_f64 v[129:130], v[38:39], s[10:11], -v[141:142]
	v_fma_f64 v[131:132], v[38:39], s[10:11], v[141:142]
	v_fma_f64 v[133:134], v[38:39], s[0:1], -v[20:21]
	v_fma_f64 v[20:21], v[38:39], s[0:1], v[20:21]
	v_add_f64_e32 v[38:39], v[143:144], v[40:41]
	v_add_f64_e32 v[8:9], v[8:9], v[90:91]
	v_mul_f64_e32 v[18:19], s[24:25], v[12:13]
	v_fma_f64 v[135:136], v[26:27], s[16:17], -v[102:103]
	v_fma_f64 v[102:103], v[26:27], s[16:17], v[102:103]
	v_add_f64_e32 v[48:49], v[34:35], v[48:49]
	v_mul_f64_e32 v[34:35], s[26:27], v[24:25]
	v_mul_f64_e32 v[24:25], s[12:13], v[24:25]
	v_add_f64_e32 v[40:41], v[145:146], v[42:43]
	v_add_f64_e32 v[42:43], v[50:51], v[88:89]
	;; [unrolled: 1-line block ×8, first 2 shown]
	v_mul_f64_e32 v[36:37], s[20:21], v[12:13]
	v_mul_f64_e32 v[96:97], s[14:15], v[12:13]
	;; [unrolled: 1-line block ×3, first 2 shown]
	v_fma_f64 v[109:110], v[26:27], s[18:19], -v[16:17]
	v_fma_f64 v[16:17], v[26:27], s[18:19], v[16:17]
	v_fma_f64 v[123:124], v[26:27], s[10:11], -v[46:47]
	v_fma_f64 v[46:47], v[26:27], s[10:11], v[46:47]
	;; [unrolled: 2-line block ×3, first 2 shown]
	v_add_f64_e32 v[4:5], v[131:132], v[4:5]
	v_add_f64_e32 v[8:9], v[117:118], v[8:9]
	;; [unrolled: 1-line block ×3, first 2 shown]
	v_mul_f64_e32 v[48:49], s[36:37], v[12:13]
	v_mul_f64_e32 v[12:13], s[12:13], v[12:13]
	v_fma_f64 v[121:122], v[26:27], s[4:5], -v[34:35]
	v_fma_f64 v[34:35], v[26:27], s[4:5], v[34:35]
	v_fma_f64 v[137:138], v[26:27], s[0:1], -v[24:25]
	v_fma_f64 v[24:25], v[26:27], s[0:1], v[24:25]
	v_add_f64_e32 v[26:27], v[111:112], v[38:39]
	v_add_f64_e32 v[38:39], v[113:114], v[40:41]
	;; [unrolled: 1-line block ×9, first 2 shown]
	v_fma_f64 v[92:93], v[14:15], s[16:17], -v[96:97]
	v_fma_f64 v[94:95], v[14:15], s[16:17], v[96:97]
	v_fma_f64 v[96:97], v[14:15], s[4:5], -v[100:101]
	v_fma_f64 v[100:101], v[14:15], s[4:5], v[100:101]
	v_add_f64_e32 v[4:5], v[102:103], v[4:5]
	v_add_f64_e32 v[8:9], v[98:99], v[8:9]
	;; [unrolled: 1-line block ×4, first 2 shown]
	v_fma_f64 v[30:31], v[14:15], s[22:23], -v[18:19]
	v_fma_f64 v[18:19], v[14:15], s[22:23], v[18:19]
	v_fma_f64 v[32:33], v[14:15], s[18:19], -v[36:37]
	v_fma_f64 v[36:37], v[14:15], s[18:19], v[36:37]
	;; [unrolled: 2-line block ×4, first 2 shown]
	v_add_f64_e32 v[14:15], v[109:110], v[26:27]
	v_add_f64_e32 v[26:27], v[121:122], v[38:39]
	;; [unrolled: 1-line block ×24, first 2 shown]
	v_mad_u32_u24 v10, 0x68, v81, 0
	ds_store_2addr_b64 v10, v[22:23], v[26:27] offset0:4 offset1:5
	ds_store_2addr_b64 v10, v[30:31], v[4:5] offset0:6 offset1:7
	;; [unrolled: 1-line block ×4, first 2 shown]
	ds_store_2addr_b64 v10, v[2:3], v[14:15] offset1:1
	ds_store_2addr_b64 v10, v[16:17], v[0:1] offset0:2 offset1:3
	ds_store_b64 v10, v[6:7] offset:96
.LBB0_19:
	s_or_b32 exec_lo, exec_lo, s33
	v_and_b32_e32 v27, 0xff, v108
	v_add_nc_u32_e32 v32, 0xea, v108
	v_and_b32_e32 v51, 0xff, v81
	v_add_nc_u32_e32 v0, 0x15f, v108
	v_add_nc_u32_e32 v1, 0x1d4, v108
	v_mul_lo_u16 v2, 0x4f, v27
	v_and_b32_e32 v3, 0xffff, v32
	v_mul_lo_u16 v5, 0x4f, v51
	v_and_b32_e32 v4, 0xffff, v0
	global_wb scope:SCOPE_SE
	s_wait_dscnt 0x0
	v_lshrrev_b16 v141, 10, v2
	v_and_b32_e32 v2, 0xffff, v1
	v_lshrrev_b16 v142, 10, v5
	v_mul_u32_u24_e32 v5, 0x4ec5, v3
	v_mul_u32_u24_e32 v6, 0x4ec5, v4
	v_mul_lo_u16 v7, v141, 13
	v_mul_u32_u24_e32 v9, 0x4ec5, v2
	v_mul_lo_u16 v8, v142, 13
	v_lshrrev_b32_e32 v143, 18, v5
	v_lshrrev_b32_e32 v144, 18, v6
	v_sub_nc_u16 v5, v108, v7
	v_lshrrev_b32_e32 v145, 18, v9
	v_sub_nc_u16 v6, v81, v8
	v_mul_lo_u16 v7, v143, 13
	v_mul_lo_u16 v8, v144, 13
	v_and_b32_e32 v146, 0xff, v5
	v_mul_lo_u16 v5, v145, 13
	v_and_b32_e32 v147, 0xff, v6
	v_sub_nc_u16 v6, v32, v7
	v_sub_nc_u16 v7, v0, v8
	v_lshlrev_b32_e32 v9, 5, v146
	v_sub_nc_u16 v13, v1, v5
	v_lshlrev_b32_e32 v17, 5, v147
	v_and_b32_e32 v148, 0xffff, v6
	v_and_b32_e32 v149, 0xffff, v7
	s_barrier_signal -1
	v_and_b32_e32 v150, 0xffff, v13
	s_barrier_wait -1
	v_lshlrev_b32_e32 v25, 5, v148
	v_lshlrev_b32_e32 v26, 5, v149
	global_inv scope:SCOPE_SE
	v_lshlrev_b32_e32 v30, 5, v150
	s_clause 0x9
	global_load_b128 v[5:8], v9, s[8:9] offset:16
	global_load_b128 v[9:12], v9, s[8:9]
	global_load_b128 v[13:16], v17, s[8:9] offset:16
	global_load_b128 v[17:20], v17, s[8:9]
	global_load_b128 v[21:24], v25, s[8:9]
	global_load_b128 v[33:36], v25, s[8:9] offset:16
	global_load_b128 v[37:40], v26, s[8:9]
	global_load_b128 v[41:44], v26, s[8:9] offset:16
	;; [unrolled: 2-line block ×3, first 2 shown]
	ds_load_2addr_b64 v[92:95], v82 offset0:84 offset1:201
	ds_load_2addr_b64 v[96:99], v84 offset0:18 offset1:135
	;; [unrolled: 1-line block ×5, first 2 shown]
	ds_load_b64 v[25:26], v80 offset:13104
	v_mul_lo_u16 v27, 0xa5, v27
	v_mul_u32_u24_e32 v153, 0xa41b, v4
	v_mul_u32_u24_e32 v154, 0xa41b, v2
	v_mul_lo_u16 v51, 0xa5, v51
	v_and_b32_e32 v141, 0xffff, v141
	v_lshrrev_b16 v151, 8, v27
	v_and_b32_e32 v142, 0xffff, v142
	v_mul_u32_u24_e32 v152, 0xa41b, v3
	v_lshrrev_b16 v51, 8, v51
	ds_load_2addr_b64 v[117:120], v80 offset1:117
	ds_load_2addr_b64 v[121:124], v83 offset0:106 offset1:223
	v_sub_nc_u16 v155, v108, v151
	s_mov_b32 s4, 0xe8584caa
	s_mov_b32 s5, 0xbfebb67a
	v_sub_nc_u16 v156, v81, v51
	s_mov_b32 s11, 0x3febb67a
	s_wait_alu 0xfffe
	s_mov_b32 s10, s4
	global_wb scope:SCOPE_SE
	s_wait_loadcnt_dscnt 0x0
	s_barrier_signal -1
	s_barrier_wait -1
	global_inv scope:SCOPE_SE
	v_mul_u32_u24_e32 v3, 0x8c09, v3
	v_mul_u32_u24_e32 v2, 0x8c09, v2
	;; [unrolled: 1-line block ×3, first 2 shown]
	s_delay_alu instid0(VALU_DEP_3) | instskip(NEXT) | instid1(VALU_DEP_3)
	v_lshrrev_b32_e32 v3, 22, v3
	v_lshrrev_b32_e32 v2, 22, v2
	s_delay_alu instid0(VALU_DEP_3) | instskip(NEXT) | instid1(VALU_DEP_3)
	v_lshrrev_b32_e32 v4, 22, v4
	v_mul_lo_u16 v3, 0x75, v3
	s_delay_alu instid0(VALU_DEP_2)
	v_mul_lo_u16 v4, 0x75, v4
	v_mul_f64_e32 v[129:130], v[102:103], v[23:24]
	v_mul_f64_e32 v[131:132], v[109:110], v[35:36]
	;; [unrolled: 1-line block ×20, first 2 shown]
	v_fma_f64 v[74:75], v[74:75], v[21:22], v[129:130]
	v_fma_f64 v[68:69], v[68:69], v[33:34], v[131:132]
	;; [unrolled: 1-line block ×10, first 2 shown]
	v_fma_f64 v[9:10], v[94:95], v[9:10], -v[11:12]
	v_fma_f64 v[5:6], v[96:97], v[5:6], -v[7:8]
	;; [unrolled: 1-line block ×10, first 2 shown]
	v_lshrrev_b32_e32 v76, 16, v153
	v_lshrrev_b32_e32 v77, 16, v154
	v_lshrrev_b16 v128, 1, v155
	v_lshrrev_b16 v129, 1, v156
	v_mul_u32_u24_e32 v78, 0x138, v141
	v_sub_nc_u16 v131, v0, v76
	v_sub_nc_u16 v132, v1, v77
	v_mul_u32_u24_e32 v79, 0x138, v142
	v_lshlrev_b32_e32 v43, 3, v146
	v_lshlrev_b32_e32 v44, 3, v147
	v_lshrrev_b16 v41, 1, v131
	v_lshrrev_b16 v42, 1, v132
	v_and_b32_e32 v128, 0x7f, v128
	v_and_b32_e32 v129, 0x7f, v129
	v_mul_u32_u24_e32 v125, 0x138, v143
	v_add_nc_u16 v41, v41, v76
	v_add_nc_u16 v42, v42, v77
	v_mul_u32_u24_e32 v126, 0x138, v144
	v_add3_u32 v100, 0, v78, v43
	v_add_f64_e32 v[35:36], v[74:75], v[68:69]
	v_add3_u32 v101, 0, v79, v44
	v_add_f64_e32 v[25:26], v[30:31], v[49:50]
	v_lshlrev_b32_e32 v43, 3, v148
	v_add_f64_e32 v[33:34], v[58:59], v[72:73]
	v_lshlrev_b32_e32 v44, 3, v149
	v_add_f64_e32 v[37:38], v[64:65], v[70:71]
	v_lshrrev_b16 v134, 5, v41
	v_add_f64_e32 v[39:40], v[66:67], v[27:28]
	v_lshrrev_b16 v135, 5, v42
	v_add_f64_e32 v[41:42], v[9:10], v[5:6]
	v_add_nc_u16 v45, v128, v151
	v_add_nc_u16 v46, v129, v51
	v_add3_u32 v110, 0, v125, v43
	v_add3_u32 v111, 0, v126, v44
	v_add_f64_e32 v[43:44], v[7:8], v[11:12]
	v_add_f64_e32 v[47:48], v[13:14], v[15:16]
	v_lshrrev_b16 v103, 5, v45
	v_lshrrev_b16 v109, 5, v46
	v_add_f64_e32 v[45:46], v[52:53], v[30:31]
	v_add_f64_e32 v[78:79], v[17:18], v[19:20]
	v_lshrrev_b32_e32 v29, 16, v152
	v_add_f64_e32 v[90:91], v[21:22], v[23:24]
	v_add_f64_e64 v[76:77], v[9:10], -v[5:6]
	v_add_f64_e32 v[88:89], v[54:55], v[58:59]
	v_add_f64_e32 v[94:95], v[60:61], v[74:75]
	v_sub_nc_u16 v130, v32, v29
	v_add_f64_e32 v[96:97], v[62:63], v[64:65]
	v_add_f64_e32 v[9:10], v[117:118], v[9:10]
	;; [unrolled: 1-line block ×3, first 2 shown]
	v_add_f64_e64 v[64:65], v[64:65], -v[70:71]
	v_lshrrev_b16 v130, 1, v130
	v_add_f64_e64 v[66:67], v[66:67], -v[27:28]
	v_and_b32_e32 v136, 7, v103
	v_and_b32_e32 v137, 7, v109
	v_mul_lo_u16 v109, v135, 39
	v_add_nc_u16 v29, v130, v29
	v_mul_lo_u16 v103, v134, 39
	v_fma_f64 v[35:36], v[35:36], -0.5, v[60:61]
	v_add_f64_e64 v[60:61], v[17:18], -v[19:20]
	v_fma_f64 v[25:26], v[25:26], -0.5, v[52:53]
	v_lshrrev_b16 v133, 5, v29
	v_add_f64_e64 v[51:52], v[7:8], -v[11:12]
	v_fma_f64 v[33:34], v[33:34], -0.5, v[54:55]
	v_add_f64_e64 v[53:54], v[13:14], -v[15:16]
	v_fma_f64 v[37:38], v[37:38], -0.5, v[62:63]
	;; [unrolled: 2-line block ×3, first 2 shown]
	v_mul_lo_u16 v29, v133, 39
	v_fma_f64 v[41:42], v[41:42], -0.5, v[117:118]
	v_add_f64_e32 v[7:8], v[119:120], v[7:8]
	v_add_f64_e64 v[55:56], v[58:59], -v[72:73]
	v_add_f64_e32 v[13:14], v[121:122], v[13:14]
	v_sub_nc_u16 v114, v32, v29
	v_add_f64_e64 v[29:30], v[30:31], -v[49:50]
	v_fma_f64 v[43:44], v[43:44], -0.5, v[119:120]
	v_add_f64_e64 v[57:58], v[74:75], -v[68:69]
	v_fma_f64 v[47:48], v[47:48], -0.5, v[121:122]
	v_add_f64_e32 v[17:18], v[123:124], v[17:18]
	v_add_f64_e32 v[45:46], v[45:46], v[49:50]
	v_fma_f64 v[49:50], v[78:79], -0.5, v[123:124]
	v_add_f64_e32 v[21:22], v[92:93], v[21:22]
	v_fma_f64 v[74:75], v[90:91], -0.5, v[92:93]
	v_mul_lo_u16 v112, v136, 39
	v_mul_lo_u16 v113, v137, 39
	v_add_f64_e32 v[70:71], v[96:97], v[70:71]
	v_add_f64_e32 v[72:73], v[88:89], v[72:73]
	;; [unrolled: 1-line block ×4, first 2 shown]
	v_sub_nc_u16 v31, v0, v103
	v_and_b32_e32 v138, 0xffff, v114
	v_mul_u32_u24_e32 v127, 0x138, v145
	v_lshlrev_b32_e32 v102, 3, v150
	v_sub_nc_u16 v0, v0, v4
	v_and_b32_e32 v139, 0xffff, v31
	v_lshlrev_b32_e32 v31, 5, v138
	s_delay_alu instid0(VALU_DEP_4)
	v_add3_u32 v102, 0, v127, v102
	v_fma_f64 v[78:79], v[76:77], s[4:5], v[25:26]
	s_wait_alu 0xfffe
	v_fma_f64 v[25:26], v[76:77], s[10:11], v[25:26]
	v_lshlrev_b32_e32 v98, 5, v139
	v_fma_f64 v[76:77], v[51:52], s[4:5], v[33:34]
	v_fma_f64 v[33:34], v[51:52], s[10:11], v[33:34]
	;; [unrolled: 1-line block ×8, first 2 shown]
	v_sub_nc_u16 v61, v1, v109
	v_sub_nc_u16 v62, v108, v112
	v_add_f64_e32 v[88:89], v[7:8], v[11:12]
	v_fma_f64 v[96:97], v[29:30], s[10:11], v[41:42]
	v_fma_f64 v[29:30], v[29:30], s[4:5], v[41:42]
	v_and_b32_e32 v140, 0xffff, v61
	v_and_b32_e32 v141, 0xff, v62
	v_add_f64_e32 v[61:62], v[9:10], v[5:6]
	v_fma_f64 v[41:42], v[55:56], s[10:11], v[43:44]
	v_sub_nc_u16 v63, v81, v113
	v_fma_f64 v[43:44], v[55:56], s[4:5], v[43:44]
	v_add_f64_e32 v[90:91], v[13:14], v[15:16]
	v_fma_f64 v[55:56], v[57:58], s[10:11], v[47:48]
	v_fma_f64 v[47:48], v[57:58], s[4:5], v[47:48]
	v_add_f64_e32 v[92:93], v[17:18], v[19:20]
	v_fma_f64 v[57:58], v[64:65], s[10:11], v[49:50]
	v_fma_f64 v[49:50], v[64:65], s[4:5], v[49:50]
	v_and_b32_e32 v142, 0xff, v63
	v_add_f64_e32 v[94:95], v[21:22], v[23:24]
	v_fma_f64 v[63:64], v[66:67], s[10:11], v[74:75]
	v_fma_f64 v[65:66], v[66:67], s[4:5], v[74:75]
	v_lshlrev_b32_e32 v67, 5, v141
	v_lshlrev_b32_e32 v74, 5, v142
	ds_store_2addr_b64 v100, v[45:46], v[78:79] offset1:13
	ds_store_b64 v100, v[25:26] offset:208
	ds_store_2addr_b64 v101, v[72:73], v[76:77] offset1:13
	ds_store_b64 v101, v[33:34] offset:208
	;; [unrolled: 2-line block ×5, first 2 shown]
	global_wb scope:SCOPE_SE
	s_wait_dscnt 0x0
	s_barrier_signal -1
	s_barrier_wait -1
	global_inv scope:SCOPE_SE
	ds_load_2addr_b64 v[5:8], v80 offset1:117
	ds_load_2addr_b64 v[9:12], v82 offset0:84 offset1:201
	ds_load_2addr_b64 v[13:16], v84 offset0:18 offset1:135
	;; [unrolled: 1-line block ×6, first 2 shown]
	ds_load_b64 v[77:78], v80 offset:13104
	global_wb scope:SCOPE_SE
	s_wait_dscnt 0x0
	s_barrier_signal -1
	s_barrier_wait -1
	global_inv scope:SCOPE_SE
	ds_store_2addr_b64 v100, v[61:62], v[96:97] offset1:13
	ds_store_b64 v100, v[29:30] offset:208
	ds_store_2addr_b64 v101, v[88:89], v[41:42] offset1:13
	ds_store_b64 v101, v[43:44] offset:208
	;; [unrolled: 2-line block ×5, first 2 shown]
	v_lshlrev_b32_e32 v29, 5, v140
	global_wb scope:SCOPE_SE
	s_wait_dscnt 0x0
	s_barrier_signal -1
	s_barrier_wait -1
	global_inv scope:SCOPE_SE
	s_clause 0x9
	global_load_b128 v[37:40], v67, s[8:9] offset:432
	global_load_b128 v[41:44], v67, s[8:9] offset:416
	;; [unrolled: 1-line block ×10, first 2 shown]
	ds_load_2addr_b64 v[88:91], v82 offset0:84 offset1:201
	ds_load_2addr_b64 v[92:95], v84 offset0:18 offset1:135
	;; [unrolled: 1-line block ×5, first 2 shown]
	ds_load_b64 v[29:30], v80 offset:13104
	s_wait_loadcnt_dscnt 0x503
	v_mul_f64_e32 v[121:122], v[98:99], v[55:56]
	v_mul_f64_e32 v[115:116], v[92:93], v[39:40]
	v_mul_f64_e32 v[113:114], v[90:91], v[43:44]
	v_mul_f64_e32 v[119:120], v[94:95], v[47:48]
	v_mul_f64_e32 v[117:118], v[96:97], v[51:52]
	s_wait_loadcnt_dscnt 0x101
	v_mul_f64_e32 v[129:130], v[111:112], v[71:72]
	s_wait_loadcnt_dscnt 0x0
	v_mul_f64_e32 v[131:132], v[29:30], v[75:76]
	v_mul_f64_e32 v[123:124], v[100:101], v[59:60]
	;; [unrolled: 1-line block ×14, first 2 shown]
	v_fma_f64 v[19:20], v[19:20], v[53:54], v[121:122]
	v_fma_f64 v[115:116], v[13:14], v[37:38], v[115:116]
	;; [unrolled: 1-line block ×10, first 2 shown]
	v_fma_f64 v[41:42], v[90:91], v[41:42], -v[43:44]
	v_fma_f64 v[37:38], v[92:93], v[37:38], -v[39:40]
	;; [unrolled: 1-line block ×10, first 2 shown]
	v_dual_mov_b32 v29, 0 :: v_dual_lshlrev_b32 v28, 1, v108
	v_mul_lo_u16 v11, 0x75, v2
	v_sub_nc_u16 v12, v32, v3
	v_and_b32_e32 v125, 0xffff, v0
	v_and_b32_e32 v101, 0xffff, v133
	v_lshlrev_b64_e32 v[2:3], 4, v[28:29]
	v_sub_nc_u16 v1, v1, v11
	v_and_b32_e32 v79, 0xffff, v12
	ds_load_2addr_b64 v[11:14], v83 offset0:106 offset1:223
	v_and_b32_e32 v102, 0xffff, v134
	v_mul_u32_u24_e32 v101, 0x3a8, v101
	v_add_co_u32 v65, s0, s8, v2
	s_wait_alu 0xf1ff
	v_add_co_ci_u32_e64 v66, s0, s9, v3, s0
	v_and_b32_e32 v126, 0xffff, v1
	ds_load_2addr_b64 v[0:3], v80 offset1:117
	v_add_f64_e32 v[94:95], v[21:22], v[19:20]
	v_lshlrev_b32_e32 v111, 3, v138
	v_add_f64_e32 v[55:56], v[113:114], v[115:116]
	v_add_f64_e32 v[69:70], v[5:6], v[113:114]
	v_add_f64_e32 v[57:58], v[17:18], v[15:16]
	v_add_f64_e32 v[90:91], v[7:8], v[17:18]
	v_add_f64_e32 v[63:64], v[35:36], v[77:78]
	v_add_f64_e32 v[59:60], v[19:20], v[25:26]
	v_add_f64_e32 v[98:99], v[9:10], v[35:36]
	v_add_f64_e32 v[61:62], v[33:34], v[117:118]
	v_add_f64_e32 v[96:97], v[23:24], v[33:34]
	v_add_f64_e32 v[27:28], v[41:42], v[37:38]
	v_add_f64_e64 v[73:74], v[41:42], -v[37:38]
	v_add_f64_e32 v[67:68], v[39:40], v[43:44]
	v_add_f64_e64 v[17:18], v[17:18], -v[15:16]
	v_add_f64_e32 v[71:72], v[45:46], v[47:48]
	;; [unrolled: 2-line block ×3, first 2 shown]
	v_mul_u32_u24_e32 v102, 0x3a8, v102
	v_add_f64_e32 v[92:93], v[53:54], v[30:31]
	s_wait_dscnt 0x0
	v_add_f64_e32 v[41:42], v[0:1], v[41:42]
	v_lshlrev_b32_e32 v100, 5, v79
	global_wb scope:SCOPE_SE
	s_barrier_signal -1
	s_barrier_wait -1
	global_inv scope:SCOPE_SE
	v_add_f64_e32 v[25:26], v[94:95], v[25:26]
	v_fma_f64 v[4:5], v[55:56], -0.5, v[5:6]
	v_add_f64_e64 v[55:56], v[39:40], -v[43:44]
	v_fma_f64 v[6:7], v[57:58], -0.5, v[7:8]
	v_add_f64_e64 v[57:58], v[45:46], -v[47:48]
	v_fma_f64 v[8:9], v[63:64], -0.5, v[9:10]
	v_and_b32_e32 v63, 0xffff, v136
	v_and_b32_e32 v64, 0xffff, v137
	;; [unrolled: 1-line block ×3, first 2 shown]
	v_fma_f64 v[21:22], v[59:60], -0.5, v[21:22]
	v_add_f64_e64 v[59:60], v[49:50], -v[51:52]
	v_fma_f64 v[23:24], v[61:62], -0.5, v[23:24]
	v_add_f64_e64 v[61:62], v[53:54], -v[30:31]
	v_mul_u32_u24_e32 v109, 0x3a8, v63
	v_mul_u32_u24_e32 v110, 0x3a8, v64
	v_add_f64_e64 v[63:64], v[113:114], -v[115:116]
	v_add_f64_e32 v[45:46], v[11:12], v[45:46]
	v_fma_f64 v[0:1], v[27:28], -0.5, v[0:1]
	v_add_f64_e32 v[39:40], v[2:3], v[39:40]
	v_add_f64_e32 v[49:50], v[13:14], v[49:50]
	v_fma_f64 v[2:3], v[67:68], -0.5, v[2:3]
	v_mul_u32_u24_e32 v103, 0x3a8, v10
	v_add_f64_e32 v[53:54], v[88:89], v[53:54]
	v_fma_f64 v[10:11], v[71:72], -0.5, v[11:12]
	v_add_f64_e64 v[27:28], v[33:34], -v[117:118]
	v_fma_f64 v[12:13], v[75:76], -0.5, v[13:14]
	v_add_f64_e64 v[33:34], v[35:36], -v[77:78]
	v_fma_f64 v[67:68], v[92:93], -0.5, v[88:89]
	v_add_f64_e32 v[35:36], v[69:70], v[115:116]
	v_add_f64_e32 v[37:38], v[41:42], v[37:38]
	;; [unrolled: 1-line block ×4, first 2 shown]
	v_lshlrev_b32_e32 v77, 3, v142
	v_add_f64_e32 v[69:70], v[96:97], v[117:118]
	v_lshlrev_b32_e32 v16, 3, v139
	v_add3_u32 v90, 0, v101, v111
	s_delay_alu instid0(VALU_DEP_4)
	v_add3_u32 v94, 0, v110, v77
	v_fma_f64 v[75:76], v[73:74], s[4:5], v[4:5]
	v_fma_f64 v[4:5], v[73:74], s[10:11], v[4:5]
	;; [unrolled: 1-line block ×4, first 2 shown]
	v_add3_u32 v91, 0, v102, v16
	v_fma_f64 v[55:56], v[57:58], s[4:5], v[21:22]
	v_fma_f64 v[21:22], v[57:58], s[10:11], v[21:22]
	;; [unrolled: 1-line block ×6, first 2 shown]
	v_lshlrev_b32_e32 v61, 3, v140
	v_lshlrev_b32_e32 v62, 3, v141
	v_add_f64_e32 v[41:42], v[45:46], v[47:48]
	v_fma_f64 v[45:46], v[63:64], s[10:11], v[0:1]
	v_fma_f64 v[47:48], v[63:64], s[4:5], v[0:1]
	v_add_f64_e32 v[39:40], v[39:40], v[43:44]
	v_add_f64_e32 v[43:44], v[49:50], v[51:52]
	v_fma_f64 v[49:50], v[17:18], s[10:11], v[2:3]
	v_fma_f64 v[51:52], v[17:18], s[4:5], v[2:3]
	v_add_f64_e32 v[30:31], v[53:54], v[30:31]
	v_fma_f64 v[53:54], v[19:20], s[10:11], v[10:11]
	v_add3_u32 v92, 0, v103, v61
	v_add3_u32 v93, 0, v109, v62
	v_fma_f64 v[61:62], v[19:20], s[4:5], v[10:11]
	v_fma_f64 v[63:64], v[27:28], s[10:11], v[12:13]
	;; [unrolled: 1-line block ×5, first 2 shown]
	ds_store_2addr_b64 v93, v[35:36], v[75:76] offset1:39
	ds_store_b64 v93, v[4:5] offset:624
	ds_store_2addr_b64 v94, v[14:15], v[73:74] offset1:39
	ds_store_b64 v94, v[6:7] offset:624
	;; [unrolled: 2-line block ×5, first 2 shown]
	global_wb scope:SCOPE_SE
	s_wait_dscnt 0x0
	s_barrier_signal -1
	s_barrier_wait -1
	global_inv scope:SCOPE_SE
	ds_load_2addr_b64 v[0:3], v80 offset1:117
	ds_load_2addr_b64 v[4:7], v82 offset0:84 offset1:201
	ds_load_2addr_b64 v[8:11], v84 offset0:18 offset1:135
	;; [unrolled: 1-line block ×6, first 2 shown]
	ds_load_b64 v[96:97], v80 offset:13104
	global_wb scope:SCOPE_SE
	s_wait_dscnt 0x0
	s_barrier_signal -1
	s_barrier_wait -1
	global_inv scope:SCOPE_SE
	ds_store_2addr_b64 v93, v[37:38], v[45:46] offset1:39
	ds_store_b64 v93, v[47:48] offset:624
	ds_store_2addr_b64 v94, v[39:40], v[49:50] offset1:39
	ds_store_b64 v94, v[51:52] offset:624
	;; [unrolled: 2-line block ×5, first 2 shown]
	global_wb scope:SCOPE_SE
	s_wait_dscnt 0x0
	s_barrier_signal -1
	s_barrier_wait -1
	global_inv scope:SCOPE_SE
	s_clause 0x1
	global_load_b128 v[33:36], v[65:66], off offset:1680
	global_load_b128 v[37:40], v[65:66], off offset:1664
	v_lshlrev_b32_e32 v28, 5, v125
	v_lshlrev_b32_e32 v30, 5, v126
	s_clause 0x5
	global_load_b128 v[41:44], v100, s[8:9] offset:1664
	global_load_b128 v[45:48], v100, s[8:9] offset:1680
	;; [unrolled: 1-line block ×6, first 2 shown]
	ds_load_2addr_b64 v[65:68], v82 offset0:84 offset1:201
	ds_load_2addr_b64 v[69:72], v84 offset0:18 offset1:135
	;; [unrolled: 1-line block ×5, first 2 shown]
	ds_load_b64 v[30:31], v80 offset:13104
	v_lshl_add_u32 v28, v79, 3, 0
	v_lshl_add_u32 v79, v125, 3, 0
	s_wait_loadcnt_dscnt 0x503
	v_mul_f64_e32 v[109:110], v[75:76], v[43:44]
	v_mul_f64_e32 v[77:78], v[67:68], v[39:40]
	;; [unrolled: 1-line block ×5, first 2 shown]
	s_wait_loadcnt_dscnt 0x402
	v_mul_f64_e32 v[111:112], v[88:89], v[47:48]
	s_wait_loadcnt_dscnt 0x301
	v_mul_f64_e32 v[113:114], v[92:93], v[51:52]
	s_wait_loadcnt 0x2
	v_mul_f64_e32 v[115:116], v[90:91], v[55:56]
	s_wait_loadcnt 0x1
	v_mul_f64_e32 v[117:118], v[94:95], v[59:60]
	s_wait_loadcnt_dscnt 0x0
	v_mul_f64_e32 v[119:120], v[30:31], v[63:64]
	v_mul_f64_e32 v[121:122], v[6:7], v[39:40]
	;; [unrolled: 1-line block ×11, first 2 shown]
	v_fma_f64 v[14:15], v[14:15], v[41:42], v[109:110]
	v_fma_f64 v[77:78], v[6:7], v[37:38], v[77:78]
	;; [unrolled: 1-line block ×10, first 2 shown]
	v_fma_f64 v[67:68], v[67:68], v[37:38], -v[121:122]
	v_fma_f64 v[69:70], v[69:70], v[33:34], -v[123:124]
	v_fma_f64 v[37:38], v[73:74], v[37:38], -v[39:40]
	v_fma_f64 v[33:34], v[71:72], v[33:34], -v[35:36]
	v_fma_f64 v[35:36], v[75:76], v[41:42], -v[43:44]
	v_fma_f64 v[39:40], v[88:89], v[45:46], -v[47:48]
	v_fma_f64 v[41:42], v[92:93], v[49:50], -v[51:52]
	v_fma_f64 v[43:44], v[90:91], v[53:54], -v[55:56]
	v_fma_f64 v[45:46], v[94:95], v[57:58], -v[59:60]
	v_fma_f64 v[30:31], v[30:31], v[61:62], -v[63:64]
	ds_load_2addr_b64 v[6:9], v80 offset1:117
	ds_load_2addr_b64 v[10:13], v83 offset0:106 offset1:223
	global_wb scope:SCOPE_SE
	s_wait_dscnt 0x0
	s_barrier_signal -1
	s_barrier_wait -1
	global_inv scope:SCOPE_SE
	v_add_f64_e32 v[92:93], v[16:17], v[14:15]
	v_add_f64_e32 v[57:58], v[0:1], v[77:78]
	;; [unrolled: 1-line block ×10, first 2 shown]
	v_add_f64_e64 v[14:15], v[14:15], -v[20:21]
	v_add_f64_e32 v[61:62], v[67:68], v[69:70]
	v_add_f64_e64 v[59:60], v[67:68], -v[69:70]
	v_add_f64_e32 v[71:72], v[37:38], v[33:34]
	;; [unrolled: 2-line block ×4, first 2 shown]
	v_add_f64_e32 v[37:38], v[8:9], v[37:38]
	v_add_f64_e32 v[90:91], v[45:46], v[30:31]
	;; [unrolled: 1-line block ×3, first 2 shown]
	v_add_f64_e64 v[24:25], v[24:25], -v[22:23]
	v_add_f64_e64 v[26:27], v[26:27], -v[96:97]
	v_add_f64_e32 v[20:21], v[92:93], v[20:21]
	v_add_f64_e32 v[57:58], v[57:58], v[98:99]
	v_fma_f64 v[0:1], v[47:48], -0.5, v[0:1]
	v_add_f64_e64 v[47:48], v[41:42], -v[43:44]
	v_fma_f64 v[2:3], v[49:50], -0.5, v[2:3]
	v_fma_f64 v[16:17], v[51:52], -0.5, v[16:17]
	v_add_f64_e64 v[49:50], v[45:46], -v[30:31]
	v_fma_f64 v[18:19], v[53:54], -0.5, v[18:19]
	v_add_f64_e32 v[51:52], v[6:7], v[67:68]
	v_fma_f64 v[4:5], v[55:56], -0.5, v[4:5]
	v_add_f64_e64 v[53:54], v[77:78], -v[98:99]
	v_add_f64_e32 v[41:42], v[12:13], v[41:42]
	v_fma_f64 v[6:7], v[61:62], -0.5, v[6:7]
	v_add_f64_e64 v[55:56], v[100:101], -v[102:103]
	v_add_f64_e32 v[45:46], v[65:66], v[45:46]
	v_fma_f64 v[8:9], v[71:72], -0.5, v[8:9]
	v_fma_f64 v[10:11], v[75:76], -0.5, v[10:11]
	;; [unrolled: 1-line block ×3, first 2 shown]
	v_add_f64_e32 v[63:64], v[63:64], v[102:103]
	v_fma_f64 v[61:62], v[90:91], -0.5, v[65:66]
	v_add_f64_e32 v[22:23], v[109:110], v[22:23]
	v_add_f64_e32 v[65:66], v[111:112], v[96:97]
	v_add_f64_e32 v[33:34], v[37:38], v[33:34]
	v_add_f64_e32 v[35:36], v[35:36], v[39:40]
	v_lshl_add_u32 v88, v126, 3, 0
	v_add_nc_u32_e32 v89, 0x1400, v28
	v_add_nc_u32_e32 v90, 0x2000, v79
	s_delay_alu instid0(VALU_DEP_3)
	v_add_nc_u32_e32 v91, 0x2800, v88
	v_fma_f64 v[67:68], v[59:60], s[4:5], v[0:1]
	v_fma_f64 v[0:1], v[59:60], s[10:11], v[0:1]
	;; [unrolled: 1-line block ×10, first 2 shown]
	v_add_f64_e32 v[47:48], v[51:52], v[69:70]
	v_add_f64_e32 v[37:38], v[41:42], v[43:44]
	v_fma_f64 v[41:42], v[53:54], s[10:11], v[6:7]
	v_fma_f64 v[43:44], v[53:54], s[4:5], v[6:7]
	v_add_f64_e32 v[39:40], v[45:46], v[30:31]
	v_fma_f64 v[45:46], v[55:56], s[10:11], v[8:9]
	v_fma_f64 v[49:50], v[55:56], s[4:5], v[8:9]
	;; [unrolled: 1-line block ×8, first 2 shown]
	ds_store_2addr_b64 v80, v[57:58], v[67:68] offset1:117
	ds_store_2addr_b64 v83, v[0:1], v[63:64] offset0:106 offset1:223
	ds_store_2addr_b64 v82, v[59:60], v[2:3] offset0:84 offset1:201
	ds_store_2addr_b64 v89, v[20:21], v[71:72] offset0:62 offset1:179
	ds_store_2addr_b64 v90, v[22:23], v[73:74] offset0:29 offset1:146
	ds_store_2addr_b64 v91, v[65:66], v[75:76] offset0:124 offset1:241
	ds_store_b64 v28, v[16:17] offset:7488
	ds_store_b64 v79, v[18:19] offset:10296
	;; [unrolled: 1-line block ×3, first 2 shown]
	global_wb scope:SCOPE_SE
	s_wait_dscnt 0x0
	s_barrier_signal -1
	s_barrier_wait -1
	global_inv scope:SCOPE_SE
	ds_load_2addr_b64 v[4:7], v80 offset1:117
	ds_load_2addr_b64 v[0:3], v83 offset0:106 offset1:223
	ds_load_2addr_b64 v[12:15], v85 offset0:62 offset1:179
	;; [unrolled: 1-line block ×6, first 2 shown]
	ds_load_b64 v[30:31], v80 offset:13104
	global_wb scope:SCOPE_SE
	s_wait_dscnt 0x0
	s_barrier_signal -1
	s_barrier_wait -1
	global_inv scope:SCOPE_SE
	ds_store_2addr_b64 v80, v[47:48], v[41:42] offset1:117
	ds_store_2addr_b64 v83, v[43:44], v[33:34] offset0:106 offset1:223
	ds_store_2addr_b64 v82, v[45:46], v[49:50] offset0:84 offset1:201
	;; [unrolled: 1-line block ×5, first 2 shown]
	ds_store_b64 v28, v[69:70] offset:7488
	ds_store_b64 v79, v[77:78] offset:10296
	ds_store_b64 v88, v[61:62] offset:13104
	global_wb scope:SCOPE_SE
	s_wait_dscnt 0x0
	s_barrier_signal -1
	s_barrier_wait -1
	global_inv scope:SCOPE_SE
	s_and_saveexec_b32 s0, vcc_lo
	s_cbranch_execz .LBB0_21
; %bb.20:
	v_dual_mov_b32 v113, v29 :: v_dual_lshlrev_b32 v28, 2, v32
	v_mul_hi_u32 v93, 0x756cac21, v108
	v_add_nc_u32_e32 v116, 0x75, v108
	v_dual_mov_b32 v120, v29 :: v_dual_add_nc_u32 v119, 0xea, v108
	s_delay_alu instid0(VALU_DEP_4) | instskip(SKIP_1) | instid1(VALU_DEP_4)
	v_lshlrev_b64_e32 v[32:33], 4, v[28:29]
	v_dual_mov_b32 v115, v29 :: v_dual_lshlrev_b32 v28, 2, v81
	v_mul_hi_u32 v102, 0x756cac21, v116
	v_mov_b32_e32 v117, v29
	v_sub_nc_u32_e32 v85, v108, v93
	s_delay_alu instid0(VALU_DEP_4) | instskip(SKIP_4) | instid1(VALU_DEP_3)
	v_lshlrev_b64_e32 v[34:35], 4, v[28:29]
	v_lshlrev_b32_e32 v28, 2, v108
	v_add_co_u32 v44, vcc_lo, s8, v32
	s_wait_alu 0xfffd
	v_add_co_ci_u32_e32 v45, vcc_lo, s9, v33, vcc_lo
	v_lshlrev_b64_e32 v[56:57], 4, v[28:29]
	v_add_co_u32 v60, vcc_lo, s8, v34
	s_wait_alu 0xfffd
	v_add_co_ci_u32_e32 v61, vcc_lo, s9, v35, vcc_lo
	s_clause 0x5
	global_load_b128 v[32:35], v[44:45], off offset:5424
	global_load_b128 v[36:39], v[44:45], off offset:5408
	global_load_b128 v[40:43], v[44:45], off offset:5440
	global_load_b128 v[44:47], v[44:45], off offset:5456
	global_load_b128 v[48:51], v[60:61], off offset:5424
	global_load_b128 v[52:55], v[60:61], off offset:5408
	v_add_co_u32 v76, vcc_lo, s8, v56
	s_wait_alu 0xfffd
	v_add_co_ci_u32_e32 v77, vcc_lo, s9, v57, vcc_lo
	s_clause 0x5
	global_load_b128 v[56:59], v[60:61], off offset:5440
	global_load_b128 v[60:63], v[60:61], off offset:5456
	;; [unrolled: 1-line block ×6, first 2 shown]
	v_lshlrev_b64_e32 v[111:112], 4, v[104:105]
	v_mul_hi_u32 v104, 0x756cac21, v119
	v_lshrrev_b32_e32 v94, 1, v85
	v_mul_lo_u32 v28, s3, v106
	v_mul_lo_u32 v100, s2, v107
	v_mad_co_u64_u32 v[106:107], null, s2, v106, 0
	v_sub_nc_u32_e32 v95, v116, v102
	v_dual_mov_b32 v122, v29 :: v_dual_add_nc_u32 v105, v94, v93
	v_sub_nc_u32_e32 v103, v119, v104
	v_add_nc_u32_e32 v84, 0x1c00, v80
	v_add_nc_u32_e32 v92, 0x2400, v80
	v_dual_mov_b32 v118, v29 :: v_dual_add_nc_u32 v101, 0x1400, v80
	v_lshrrev_b32_e32 v121, 1, v95
	v_add_nc_u32_e32 v88, 0xc00, v80
	v_add_nc_u32_e32 v96, 0x400, v80
	;; [unrolled: 1-line block ×3, first 2 shown]
	v_lshrrev_b32_e32 v123, 1, v103
	v_lshrrev_b32_e32 v105, 8, v105
	v_add3_u32 v107, v107, v100, v28
	ds_load_b64 v[109:110], v80 offset:13104
	ds_load_2addr_b64 v[80:83], v80 offset1:117
	ds_load_2addr_b64 v[84:87], v84 offset0:40 offset1:157
	ds_load_2addr_b64 v[88:91], v88 offset0:84 offset1:201
	;; [unrolled: 1-line block ×4, first 2 shown]
	v_add_nc_u32_e32 v121, v121, v102
	ds_load_2addr_b64 v[100:103], v101 offset0:62 offset1:179
	v_add_nc_u32_e32 v28, v123, v104
	v_mul_u32_u24_e32 v125, 0x15f, v105
	v_lshlrev_b64_e32 v[123:124], 4, v[106:107]
	ds_load_2addr_b64 v[104:107], v114 offset0:124 offset1:241
	v_lshrrev_b32_e32 v121, 8, v121
	v_lshrrev_b32_e32 v151, 8, v28
	v_sub_nc_u32_e32 v28, v108, v125
	s_mov_b32 s8, 0x134454ff
	v_add_co_u32 v114, vcc_lo, s6, v123
	s_wait_alu 0xfffd
	v_add_co_ci_u32_e32 v147, vcc_lo, s7, v124, vcc_lo
	v_mul_u32_u24_e32 v108, 0x15f, v121
	v_lshlrev_b32_e32 v149, 4, v28
	v_add_co_u32 v171, vcc_lo, v114, v111
	s_wait_alu 0xfffd
	v_add_co_ci_u32_e32 v172, vcc_lo, v147, v112, vcc_lo
	v_sub_nc_u32_e32 v28, v116, v108
	v_mul_u32_u24_e32 v148, 0x15f, v151
	v_add_co_u32 v147, vcc_lo, v171, v149
	s_mov_b32 s9, 0x3fee6f0e
	s_delay_alu instid0(VALU_DEP_3) | instskip(NEXT) | instid1(VALU_DEP_3)
	v_mad_u32_u24 v28, 0x6db, v121, v28
	v_sub_nc_u32_e32 v119, v119, v148
	s_wait_alu 0xfffd
	v_add_co_ci_u32_e32 v148, vcc_lo, 0, v172, vcc_lo
	s_mov_b32 s11, 0xbfee6f0e
	v_add_nc_u32_e32 v112, 0x15f, v28
	v_lshlrev_b64_e32 v[149:150], 4, v[28:29]
	v_add_nc_u32_e32 v114, 0x2be, v28
	v_add_nc_u32_e32 v116, 0x41d, v28
	;; [unrolled: 1-line block ×3, first 2 shown]
	v_lshlrev_b64_e32 v[111:112], 4, v[112:113]
	s_wait_alu 0xfffe
	s_mov_b32 s10, s8
	s_mov_b32 s2, 0x4755a5e
	;; [unrolled: 1-line block ×4, first 2 shown]
	s_wait_alu 0xfffe
	s_mov_b32 s4, s2
	s_mov_b32 s0, 0x372fe950
	;; [unrolled: 1-line block ×3, first 2 shown]
	s_wait_loadcnt 0xb
	v_mul_f64_e32 v[123:124], v[24:25], v[34:35]
	s_wait_loadcnt 0xa
	v_mul_f64_e32 v[125:126], v[18:19], v[38:39]
	;; [unrolled: 2-line block ×4, first 2 shown]
	s_wait_dscnt 0x5
	v_mul_f64_e32 v[34:35], v[84:85], v[34:35]
	s_wait_dscnt 0x3
	v_mul_f64_e32 v[42:43], v[94:95], v[42:43]
	v_mul_f64_e32 v[38:39], v[90:91], v[38:39]
	;; [unrolled: 1-line block ×3, first 2 shown]
	s_wait_loadcnt 0x7
	v_mul_f64_e32 v[131:132], v[14:15], v[50:51]
	s_wait_loadcnt 0x6
	v_mul_f64_e32 v[133:134], v[16:17], v[54:55]
	;; [unrolled: 2-line block ×8, first 2 shown]
	s_wait_dscnt 0x1
	v_mul_f64_e32 v[66:67], v[100:101], v[66:67]
	v_mul_f64_e32 v[78:79], v[86:87], v[78:79]
	;; [unrolled: 1-line block ×3, first 2 shown]
	s_wait_dscnt 0x0
	v_mul_f64_e32 v[74:75], v[104:105], v[74:75]
	v_mul_f64_e32 v[50:51], v[102:103], v[50:51]
	;; [unrolled: 1-line block ×5, first 2 shown]
	v_fma_f64 v[84:85], v[84:85], v[32:33], -v[123:124]
	v_fma_f64 v[90:91], v[90:91], v[36:37], -v[125:126]
	;; [unrolled: 1-line block ×4, first 2 shown]
	v_fma_f64 v[24:25], v[24:25], v[32:33], v[34:35]
	v_fma_f64 v[22:23], v[22:23], v[40:41], v[42:43]
	v_fma_f64 v[18:19], v[18:19], v[36:37], v[38:39]
	v_fma_f64 v[30:31], v[30:31], v[44:45], v[46:47]
	v_fma_f64 v[32:33], v[102:103], v[48:49], -v[131:132]
	v_fma_f64 v[34:35], v[88:89], v[52:53], -v[133:134]
	;; [unrolled: 1-line block ×8, first 2 shown]
	v_fma_f64 v[12:13], v[12:13], v[64:65], v[66:67]
	v_fma_f64 v[26:27], v[26:27], v[76:77], v[78:79]
	;; [unrolled: 1-line block ×8, first 2 shown]
	v_add_co_u32 v62, vcc_lo, v171, v149
	s_wait_alu 0xfffd
	v_add_co_ci_u32_e32 v63, vcc_lo, v172, v150, vcc_lo
	v_add_co_u32 v68, vcc_lo, v171, v111
	v_lshlrev_b64_e32 v[64:65], 4, v[114:115]
	s_wait_alu 0xfffd
	v_add_co_ci_u32_e32 v69, vcc_lo, v172, v112, vcc_lo
	v_lshlrev_b64_e32 v[50:51], 4, v[28:29]
	v_mad_u32_u24 v28, 0x6db, v151, v119
	v_lshlrev_b64_e32 v[48:49], 4, v[116:117]
	v_add_co_u32 v64, vcc_lo, v171, v64
	s_wait_alu 0xfffd
	v_add_co_ci_u32_e32 v65, vcc_lo, v172, v65, vcc_lo
	v_add_f64_e32 v[56:57], v[84:85], v[94:95]
	v_add_f64_e32 v[52:53], v[90:91], v[108:109]
	v_add_f64_e64 v[54:55], v[84:85], -v[90:91]
	v_add_f64_e32 v[114:115], v[24:25], v[22:23]
	v_add_f64_e64 v[102:103], v[24:25], -v[18:19]
	;; [unrolled: 2-line block ×3, first 2 shown]
	v_add_f64_e64 v[125:126], v[18:19], -v[24:25]
	v_add_f64_e32 v[72:73], v[32:33], v[36:37]
	v_add_f64_e32 v[60:61], v[34:35], v[38:39]
	;; [unrolled: 1-line block ×10, first 2 shown]
	v_add_f64_e64 v[58:59], v[94:95], -v[108:109]
	v_add_f64_e32 v[104:105], v[14:15], v[20:21]
	v_add_f64_e32 v[149:150], v[6:7], v[16:17]
	v_add_f64_e32 v[106:107], v[16:17], v[10:11]
	v_add_f64_e64 v[70:71], v[24:25], -v[22:23]
	v_add_f64_e64 v[86:87], v[90:91], -v[84:85]
	;; [unrolled: 1-line block ×3, first 2 shown]
	v_add_f64_e32 v[100:101], v[90:91], v[96:97]
	v_add_f64_e64 v[110:111], v[22:23], -v[30:31]
	v_add_f64_e64 v[127:128], v[30:31], -v[22:23]
	v_add_f64_e64 v[133:134], v[14:15], -v[20:21]
	v_add_f64_e64 v[155:156], v[2:3], -v[8:9]
	v_add_f64_e64 v[135:136], v[16:17], -v[10:11]
	v_add_f64_e64 v[129:130], v[32:33], -v[34:35]
	v_add_f64_e64 v[137:138], v[34:35], -v[32:33]
	v_add_f64_e64 v[34:35], v[34:35], -v[38:39]
	v_add_f64_e64 v[90:91], v[90:91], -v[108:109]
	v_add_f64_e64 v[123:124], v[84:85], -v[94:95]
	v_add_f64_e64 v[143:144], v[14:15], -v[16:17]
	v_add_f64_e64 v[16:17], v[16:17], -v[14:15]
	v_fma_f64 v[56:57], v[56:57], -0.5, v[96:97]
	v_fma_f64 v[52:53], v[52:53], -0.5, v[96:97]
	v_add_f64_e64 v[96:97], v[12:13], -v[26:27]
	v_add_f64_e64 v[161:162], v[12:13], -v[2:3]
	;; [unrolled: 1-line block ×3, first 2 shown]
	v_fma_f64 v[112:113], v[112:113], -0.5, v[0:1]
	v_fma_f64 v[0:1], v[114:115], -0.5, v[0:1]
	v_add_f64_e64 v[131:132], v[36:37], -v[38:39]
	v_fma_f64 v[72:73], v[72:73], -0.5, v[82:83]
	v_fma_f64 v[60:61], v[60:61], -0.5, v[82:83]
	v_add_f64_e64 v[82:83], v[42:43], -v[44:45]
	v_add_f64_e32 v[18:19], v[24:25], v[18:19]
	v_fma_f64 v[74:75], v[74:75], -0.5, v[80:81]
	v_fma_f64 v[78:79], v[78:79], -0.5, v[80:81]
	v_add_f64_e64 v[80:81], v[40:41], -v[46:47]
	v_fma_f64 v[88:89], v[88:89], -0.5, v[4:5]
	v_add_f64_e32 v[24:25], v[32:33], v[141:142]
	v_fma_f64 v[4:5], v[92:93], -0.5, v[4:5]
	v_add_f64_e64 v[92:93], v[32:33], -v[36:37]
	v_fma_f64 v[104:105], v[104:105], -0.5, v[6:7]
	v_add_f64_e32 v[14:15], v[14:15], v[149:150]
	v_fma_f64 v[6:7], v[106:107], -0.5, v[6:7]
	v_add_f64_e32 v[32:33], v[40:41], v[151:152]
	v_add_f64_e32 v[12:13], v[12:13], v[153:154]
	v_add_f64_e64 v[139:140], v[38:39], -v[36:37]
	v_add_f64_e64 v[106:107], v[40:41], -v[42:43]
	;; [unrolled: 1-line block ×6, first 2 shown]
	v_add_f64_e32 v[54:55], v[54:55], v[58:59]
	v_add_f64_e32 v[58:59], v[86:87], v[98:99]
	;; [unrolled: 1-line block ×5, first 2 shown]
	v_add_f64_e64 v[163:164], v[26:27], -v[8:9]
	v_add_f64_e64 v[157:158], v[10:11], -v[20:21]
	;; [unrolled: 1-line block ×3, first 2 shown]
	v_fma_f64 v[100:101], v[76:77], s[10:11], v[56:57]
	v_fma_f64 v[40:41], v[70:71], s[8:9], v[52:53]
	;; [unrolled: 1-line block ×4, first 2 shown]
	v_add_nc_u32_e32 v117, 0x15f, v28
	v_fma_f64 v[167:168], v[123:124], s[10:11], v[112:113]
	v_fma_f64 v[169:170], v[90:91], s[10:11], v[0:1]
	;; [unrolled: 1-line block ×20, first 2 shown]
	v_add_f64_e32 v[14:15], v[14:15], v[20:21]
	v_add_f64_e32 v[20:21], v[46:47], v[32:33]
	;; [unrolled: 1-line block ×13, first 2 shown]
	v_fma_f64 v[32:33], v[70:71], s[2:3], v[100:101]
	v_fma_f64 v[24:25], v[76:77], s[2:3], v[40:41]
	s_wait_alu 0xfffe
	v_fma_f64 v[26:27], v[76:77], s[4:5], v[52:53]
	v_fma_f64 v[70:71], v[70:71], s[4:5], v[56:57]
	v_add_f64_e32 v[137:138], v[143:144], v[145:146]
	v_fma_f64 v[94:95], v[90:91], s[4:5], v[167:168]
	v_lshlrev_b64_e32 v[66:67], 4, v[28:29]
	v_fma_f64 v[90:91], v[90:91], s[2:3], v[112:113]
	v_fma_f64 v[46:47], v[133:134], s[2:3], v[110:111]
	;; [unrolled: 1-line block ×19, first 2 shown]
	v_add_co_u32 v102, vcc_lo, v171, v48
	s_wait_alu 0xfffd
	v_add_co_ci_u32_e32 v103, vcc_lo, v172, v49, vcc_lo
	v_add_co_u32 v104, vcc_lo, v171, v50
	v_add_f64_e32 v[4:5], v[14:15], v[10:11]
	v_add_f64_e32 v[10:11], v[44:45], v[20:21]
	;; [unrolled: 1-line block ×3, first 2 shown]
	s_wait_alu 0xfffd
	v_add_co_ci_u32_e32 v105, vcc_lo, v172, v51, vcc_lo
	v_add_f64_e32 v[6:7], v[38:39], v[22:23]
	v_fma_f64 v[22:23], v[58:59], s[0:1], v[32:33]
	v_add_f64_e32 v[0:1], v[18:19], v[30:31]
	v_fma_f64 v[18:19], v[54:55], s[0:1], v[26:27]
	v_fma_f64 v[14:15], v[54:55], s[0:1], v[24:25]
	v_add_f64_e32 v[2:3], v[108:109], v[2:3]
	v_fma_f64 v[12:13], v[86:87], s[0:1], v[94:95]
	v_add_nc_u32_e32 v119, 0x2be, v28
	v_lshlrev_b64_e32 v[110:111], 4, v[117:118]
	v_add_nc_u32_e32 v121, 0x41d, v28
	v_fma_f64 v[26:27], v[129:130], s[0:1], v[36:37]
	v_fma_f64 v[32:33], v[129:130], s[0:1], v[40:41]
	;; [unrolled: 1-line block ×20, first 2 shown]
	v_lshlrev_b64_e32 v[70:71], 4, v[119:120]
	v_add_co_u32 v66, vcc_lo, v171, v66
	v_add_nc_u32_e32 v28, 0x57c, v28
	s_wait_alu 0xfffd
	v_add_co_ci_u32_e32 v67, vcc_lo, v172, v67, vcc_lo
	v_lshlrev_b64_e32 v[72:73], 4, v[121:122]
	v_add_co_u32 v74, vcc_lo, v171, v110
	s_wait_alu 0xfffd
	v_add_co_ci_u32_e32 v75, vcc_lo, v172, v111, vcc_lo
	v_lshlrev_b64_e32 v[28:29], 4, v[28:29]
	v_add_co_u32 v70, vcc_lo, v171, v70
	s_wait_alu 0xfffd
	v_add_co_ci_u32_e32 v71, vcc_lo, v172, v71, vcc_lo
	v_add_co_u32 v72, vcc_lo, v171, v72
	s_wait_alu 0xfffd
	v_add_co_ci_u32_e32 v73, vcc_lo, v172, v73, vcc_lo
	;; [unrolled: 3-line block ×3, first 2 shown]
	s_clause 0xe
	global_store_b128 v[147:148], v[8:11], off
	global_store_b128 v[147:148], v[50:53], off offset:5616
	global_store_b128 v[147:148], v[42:45], off offset:11232
	;; [unrolled: 1-line block ×4, first 2 shown]
	global_store_b128 v[62:63], v[4:7], off
	global_store_b128 v[68:69], v[54:57], off
	;; [unrolled: 1-line block ×10, first 2 shown]
.LBB0_21:
	s_nop 0
	s_sendmsg sendmsg(MSG_DEALLOC_VGPRS)
	s_endpgm
	.section	.rodata,"a",@progbits
	.p2align	6, 0x0
	.amdhsa_kernel fft_rtc_back_len1755_factors_13_3_3_3_5_wgs_117_tpt_117_halfLds_dp_op_CI_CI_unitstride_sbrr_dirReg
		.amdhsa_group_segment_fixed_size 0
		.amdhsa_private_segment_fixed_size 0
		.amdhsa_kernarg_size 104
		.amdhsa_user_sgpr_count 2
		.amdhsa_user_sgpr_dispatch_ptr 0
		.amdhsa_user_sgpr_queue_ptr 0
		.amdhsa_user_sgpr_kernarg_segment_ptr 1
		.amdhsa_user_sgpr_dispatch_id 0
		.amdhsa_user_sgpr_private_segment_size 0
		.amdhsa_wavefront_size32 1
		.amdhsa_uses_dynamic_stack 0
		.amdhsa_enable_private_segment 0
		.amdhsa_system_sgpr_workgroup_id_x 1
		.amdhsa_system_sgpr_workgroup_id_y 0
		.amdhsa_system_sgpr_workgroup_id_z 0
		.amdhsa_system_sgpr_workgroup_info 0
		.amdhsa_system_vgpr_workitem_id 0
		.amdhsa_next_free_vgpr 199
		.amdhsa_next_free_sgpr 46
		.amdhsa_reserve_vcc 1
		.amdhsa_float_round_mode_32 0
		.amdhsa_float_round_mode_16_64 0
		.amdhsa_float_denorm_mode_32 3
		.amdhsa_float_denorm_mode_16_64 3
		.amdhsa_fp16_overflow 0
		.amdhsa_workgroup_processor_mode 1
		.amdhsa_memory_ordered 1
		.amdhsa_forward_progress 0
		.amdhsa_round_robin_scheduling 0
		.amdhsa_exception_fp_ieee_invalid_op 0
		.amdhsa_exception_fp_denorm_src 0
		.amdhsa_exception_fp_ieee_div_zero 0
		.amdhsa_exception_fp_ieee_overflow 0
		.amdhsa_exception_fp_ieee_underflow 0
		.amdhsa_exception_fp_ieee_inexact 0
		.amdhsa_exception_int_div_zero 0
	.end_amdhsa_kernel
	.text
.Lfunc_end0:
	.size	fft_rtc_back_len1755_factors_13_3_3_3_5_wgs_117_tpt_117_halfLds_dp_op_CI_CI_unitstride_sbrr_dirReg, .Lfunc_end0-fft_rtc_back_len1755_factors_13_3_3_3_5_wgs_117_tpt_117_halfLds_dp_op_CI_CI_unitstride_sbrr_dirReg
                                        ; -- End function
	.section	.AMDGPU.csdata,"",@progbits
; Kernel info:
; codeLenInByte = 15056
; NumSgprs: 48
; NumVgprs: 199
; ScratchSize: 0
; MemoryBound: 1
; FloatMode: 240
; IeeeMode: 1
; LDSByteSize: 0 bytes/workgroup (compile time only)
; SGPRBlocks: 5
; VGPRBlocks: 24
; NumSGPRsForWavesPerEU: 48
; NumVGPRsForWavesPerEU: 199
; Occupancy: 7
; WaveLimiterHint : 1
; COMPUTE_PGM_RSRC2:SCRATCH_EN: 0
; COMPUTE_PGM_RSRC2:USER_SGPR: 2
; COMPUTE_PGM_RSRC2:TRAP_HANDLER: 0
; COMPUTE_PGM_RSRC2:TGID_X_EN: 1
; COMPUTE_PGM_RSRC2:TGID_Y_EN: 0
; COMPUTE_PGM_RSRC2:TGID_Z_EN: 0
; COMPUTE_PGM_RSRC2:TIDIG_COMP_CNT: 0
	.text
	.p2alignl 7, 3214868480
	.fill 96, 4, 3214868480
	.type	__hip_cuid_6763ee0440a4f67f,@object ; @__hip_cuid_6763ee0440a4f67f
	.section	.bss,"aw",@nobits
	.globl	__hip_cuid_6763ee0440a4f67f
__hip_cuid_6763ee0440a4f67f:
	.byte	0                               ; 0x0
	.size	__hip_cuid_6763ee0440a4f67f, 1

	.ident	"AMD clang version 19.0.0git (https://github.com/RadeonOpenCompute/llvm-project roc-6.4.0 25133 c7fe45cf4b819c5991fe208aaa96edf142730f1d)"
	.section	".note.GNU-stack","",@progbits
	.addrsig
	.addrsig_sym __hip_cuid_6763ee0440a4f67f
	.amdgpu_metadata
---
amdhsa.kernels:
  - .args:
      - .actual_access:  read_only
        .address_space:  global
        .offset:         0
        .size:           8
        .value_kind:     global_buffer
      - .offset:         8
        .size:           8
        .value_kind:     by_value
      - .actual_access:  read_only
        .address_space:  global
        .offset:         16
        .size:           8
        .value_kind:     global_buffer
      - .actual_access:  read_only
        .address_space:  global
        .offset:         24
        .size:           8
        .value_kind:     global_buffer
      - .actual_access:  read_only
        .address_space:  global
        .offset:         32
        .size:           8
        .value_kind:     global_buffer
      - .offset:         40
        .size:           8
        .value_kind:     by_value
      - .actual_access:  read_only
        .address_space:  global
        .offset:         48
        .size:           8
        .value_kind:     global_buffer
      - .actual_access:  read_only
        .address_space:  global
        .offset:         56
        .size:           8
        .value_kind:     global_buffer
      - .offset:         64
        .size:           4
        .value_kind:     by_value
      - .actual_access:  read_only
        .address_space:  global
        .offset:         72
        .size:           8
        .value_kind:     global_buffer
      - .actual_access:  read_only
        .address_space:  global
        .offset:         80
        .size:           8
        .value_kind:     global_buffer
      - .actual_access:  read_only
        .address_space:  global
        .offset:         88
        .size:           8
        .value_kind:     global_buffer
      - .actual_access:  write_only
        .address_space:  global
        .offset:         96
        .size:           8
        .value_kind:     global_buffer
    .group_segment_fixed_size: 0
    .kernarg_segment_align: 8
    .kernarg_segment_size: 104
    .language:       OpenCL C
    .language_version:
      - 2
      - 0
    .max_flat_workgroup_size: 117
    .name:           fft_rtc_back_len1755_factors_13_3_3_3_5_wgs_117_tpt_117_halfLds_dp_op_CI_CI_unitstride_sbrr_dirReg
    .private_segment_fixed_size: 0
    .sgpr_count:     48
    .sgpr_spill_count: 0
    .symbol:         fft_rtc_back_len1755_factors_13_3_3_3_5_wgs_117_tpt_117_halfLds_dp_op_CI_CI_unitstride_sbrr_dirReg.kd
    .uniform_work_group_size: 1
    .uses_dynamic_stack: false
    .vgpr_count:     199
    .vgpr_spill_count: 0
    .wavefront_size: 32
    .workgroup_processor_mode: 1
amdhsa.target:   amdgcn-amd-amdhsa--gfx1201
amdhsa.version:
  - 1
  - 2
...

	.end_amdgpu_metadata
